;; amdgpu-corpus repo=ROCm/rocFFT kind=compiled arch=gfx1030 opt=O3
	.text
	.amdgcn_target "amdgcn-amd-amdhsa--gfx1030"
	.amdhsa_code_object_version 6
	.protected	fft_rtc_fwd_len1755_factors_13_3_3_3_5_wgs_117_tpt_117_halfLds_dp_op_CI_CI_unitstride_sbrr_dirReg ; -- Begin function fft_rtc_fwd_len1755_factors_13_3_3_3_5_wgs_117_tpt_117_halfLds_dp_op_CI_CI_unitstride_sbrr_dirReg
	.globl	fft_rtc_fwd_len1755_factors_13_3_3_3_5_wgs_117_tpt_117_halfLds_dp_op_CI_CI_unitstride_sbrr_dirReg
	.p2align	8
	.type	fft_rtc_fwd_len1755_factors_13_3_3_3_5_wgs_117_tpt_117_halfLds_dp_op_CI_CI_unitstride_sbrr_dirReg,@function
fft_rtc_fwd_len1755_factors_13_3_3_3_5_wgs_117_tpt_117_halfLds_dp_op_CI_CI_unitstride_sbrr_dirReg: ; @fft_rtc_fwd_len1755_factors_13_3_3_3_5_wgs_117_tpt_117_halfLds_dp_op_CI_CI_unitstride_sbrr_dirReg
; %bb.0:
	s_clause 0x2
	s_load_dwordx4 s[12:15], s[4:5], 0x0
	s_load_dwordx4 s[8:11], s[4:5], 0x58
	;; [unrolled: 1-line block ×3, first 2 shown]
	v_mul_u32_u24_e32 v2, 0x231, v0
	v_mov_b32_e32 v1, 0
	v_mov_b32_e32 v4, 0
	;; [unrolled: 1-line block ×3, first 2 shown]
	v_add_nc_u32_sdwa v6, s6, v2 dst_sel:DWORD dst_unused:UNUSED_PAD src0_sel:DWORD src1_sel:WORD_1
	v_mov_b32_e32 v7, v1
	s_waitcnt lgkmcnt(0)
	v_cmp_lt_u64_e64 s0, s[14:15], 2
	s_and_b32 vcc_lo, exec_lo, s0
	s_cbranch_vccnz .LBB0_8
; %bb.1:
	s_load_dwordx2 s[0:1], s[4:5], 0x10
	v_mov_b32_e32 v4, 0
	v_mov_b32_e32 v5, 0
	s_add_u32 s2, s18, 8
	s_addc_u32 s3, s19, 0
	s_add_u32 s6, s16, 8
	s_addc_u32 s7, s17, 0
	v_mov_b32_e32 v105, v5
	v_mov_b32_e32 v104, v4
	s_mov_b64 s[22:23], 1
	s_waitcnt lgkmcnt(0)
	s_add_u32 s20, s0, 8
	s_addc_u32 s21, s1, 0
.LBB0_2:                                ; =>This Inner Loop Header: Depth=1
	s_load_dwordx2 s[24:25], s[20:21], 0x0
                                        ; implicit-def: $vgpr106_vgpr107
	s_mov_b32 s0, exec_lo
	s_waitcnt lgkmcnt(0)
	v_or_b32_e32 v2, s25, v7
	v_cmpx_ne_u64_e32 0, v[1:2]
	s_xor_b32 s1, exec_lo, s0
	s_cbranch_execz .LBB0_4
; %bb.3:                                ;   in Loop: Header=BB0_2 Depth=1
	v_cvt_f32_u32_e32 v2, s24
	v_cvt_f32_u32_e32 v3, s25
	s_sub_u32 s0, 0, s24
	s_subb_u32 s26, 0, s25
	v_fmac_f32_e32 v2, 0x4f800000, v3
	v_rcp_f32_e32 v2, v2
	v_mul_f32_e32 v2, 0x5f7ffffc, v2
	v_mul_f32_e32 v3, 0x2f800000, v2
	v_trunc_f32_e32 v3, v3
	v_fmac_f32_e32 v2, 0xcf800000, v3
	v_cvt_u32_f32_e32 v3, v3
	v_cvt_u32_f32_e32 v2, v2
	v_mul_lo_u32 v8, s0, v3
	v_mul_hi_u32 v9, s0, v2
	v_mul_lo_u32 v10, s26, v2
	v_add_nc_u32_e32 v8, v9, v8
	v_mul_lo_u32 v9, s0, v2
	v_add_nc_u32_e32 v8, v8, v10
	v_mul_hi_u32 v10, v2, v9
	v_mul_lo_u32 v11, v2, v8
	v_mul_hi_u32 v12, v2, v8
	v_mul_hi_u32 v13, v3, v9
	v_mul_lo_u32 v9, v3, v9
	v_mul_hi_u32 v14, v3, v8
	v_mul_lo_u32 v8, v3, v8
	v_add_co_u32 v10, vcc_lo, v10, v11
	v_add_co_ci_u32_e32 v11, vcc_lo, 0, v12, vcc_lo
	v_add_co_u32 v9, vcc_lo, v10, v9
	v_add_co_ci_u32_e32 v9, vcc_lo, v11, v13, vcc_lo
	v_add_co_ci_u32_e32 v10, vcc_lo, 0, v14, vcc_lo
	v_add_co_u32 v8, vcc_lo, v9, v8
	v_add_co_ci_u32_e32 v9, vcc_lo, 0, v10, vcc_lo
	v_add_co_u32 v2, vcc_lo, v2, v8
	v_add_co_ci_u32_e32 v3, vcc_lo, v3, v9, vcc_lo
	v_mul_hi_u32 v8, s0, v2
	v_mul_lo_u32 v10, s26, v2
	v_mul_lo_u32 v9, s0, v3
	v_add_nc_u32_e32 v8, v8, v9
	v_mul_lo_u32 v9, s0, v2
	v_add_nc_u32_e32 v8, v8, v10
	v_mul_hi_u32 v10, v2, v9
	v_mul_lo_u32 v11, v2, v8
	v_mul_hi_u32 v12, v2, v8
	v_mul_hi_u32 v13, v3, v9
	v_mul_lo_u32 v9, v3, v9
	v_mul_hi_u32 v14, v3, v8
	v_mul_lo_u32 v8, v3, v8
	v_add_co_u32 v10, vcc_lo, v10, v11
	v_add_co_ci_u32_e32 v11, vcc_lo, 0, v12, vcc_lo
	v_add_co_u32 v9, vcc_lo, v10, v9
	v_add_co_ci_u32_e32 v9, vcc_lo, v11, v13, vcc_lo
	v_add_co_ci_u32_e32 v10, vcc_lo, 0, v14, vcc_lo
	v_add_co_u32 v8, vcc_lo, v9, v8
	v_add_co_ci_u32_e32 v9, vcc_lo, 0, v10, vcc_lo
	v_add_co_u32 v8, vcc_lo, v2, v8
	v_add_co_ci_u32_e32 v10, vcc_lo, v3, v9, vcc_lo
	v_mul_hi_u32 v12, v6, v8
	v_mad_u64_u32 v[8:9], null, v7, v8, 0
	v_mad_u64_u32 v[2:3], null, v6, v10, 0
	;; [unrolled: 1-line block ×3, first 2 shown]
	v_add_co_u32 v2, vcc_lo, v12, v2
	v_add_co_ci_u32_e32 v3, vcc_lo, 0, v3, vcc_lo
	v_add_co_u32 v2, vcc_lo, v2, v8
	v_add_co_ci_u32_e32 v2, vcc_lo, v3, v9, vcc_lo
	v_add_co_ci_u32_e32 v3, vcc_lo, 0, v11, vcc_lo
	v_add_co_u32 v8, vcc_lo, v2, v10
	v_add_co_ci_u32_e32 v9, vcc_lo, 0, v3, vcc_lo
	v_mul_lo_u32 v10, s25, v8
	v_mad_u64_u32 v[2:3], null, s24, v8, 0
	v_mul_lo_u32 v11, s24, v9
	v_sub_co_u32 v2, vcc_lo, v6, v2
	v_add3_u32 v3, v3, v11, v10
	v_sub_nc_u32_e32 v10, v7, v3
	v_subrev_co_ci_u32_e64 v10, s0, s25, v10, vcc_lo
	v_add_co_u32 v11, s0, v8, 2
	v_add_co_ci_u32_e64 v12, s0, 0, v9, s0
	v_sub_co_u32 v13, s0, v2, s24
	v_sub_co_ci_u32_e32 v3, vcc_lo, v7, v3, vcc_lo
	v_subrev_co_ci_u32_e64 v10, s0, 0, v10, s0
	v_cmp_le_u32_e32 vcc_lo, s24, v13
	v_cmp_eq_u32_e64 s0, s25, v3
	v_cndmask_b32_e64 v13, 0, -1, vcc_lo
	v_cmp_le_u32_e32 vcc_lo, s25, v10
	v_cndmask_b32_e64 v14, 0, -1, vcc_lo
	v_cmp_le_u32_e32 vcc_lo, s24, v2
	;; [unrolled: 2-line block ×3, first 2 shown]
	v_cndmask_b32_e64 v15, 0, -1, vcc_lo
	v_cmp_eq_u32_e32 vcc_lo, s25, v10
	v_cndmask_b32_e64 v2, v15, v2, s0
	v_cndmask_b32_e32 v10, v14, v13, vcc_lo
	v_add_co_u32 v13, vcc_lo, v8, 1
	v_add_co_ci_u32_e32 v14, vcc_lo, 0, v9, vcc_lo
	v_cmp_ne_u32_e32 vcc_lo, 0, v10
	v_cndmask_b32_e32 v3, v14, v12, vcc_lo
	v_cndmask_b32_e32 v10, v13, v11, vcc_lo
	v_cmp_ne_u32_e32 vcc_lo, 0, v2
	v_cndmask_b32_e32 v107, v9, v3, vcc_lo
	v_cndmask_b32_e32 v106, v8, v10, vcc_lo
.LBB0_4:                                ;   in Loop: Header=BB0_2 Depth=1
	s_andn2_saveexec_b32 s0, s1
	s_cbranch_execz .LBB0_6
; %bb.5:                                ;   in Loop: Header=BB0_2 Depth=1
	v_cvt_f32_u32_e32 v2, s24
	s_sub_i32 s1, 0, s24
	v_mov_b32_e32 v107, v1
	v_rcp_iflag_f32_e32 v2, v2
	v_mul_f32_e32 v2, 0x4f7ffffe, v2
	v_cvt_u32_f32_e32 v2, v2
	v_mul_lo_u32 v3, s1, v2
	v_mul_hi_u32 v3, v2, v3
	v_add_nc_u32_e32 v2, v2, v3
	v_mul_hi_u32 v2, v6, v2
	v_mul_lo_u32 v3, v2, s24
	v_add_nc_u32_e32 v8, 1, v2
	v_sub_nc_u32_e32 v3, v6, v3
	v_subrev_nc_u32_e32 v9, s24, v3
	v_cmp_le_u32_e32 vcc_lo, s24, v3
	v_cndmask_b32_e32 v3, v3, v9, vcc_lo
	v_cndmask_b32_e32 v2, v2, v8, vcc_lo
	v_cmp_le_u32_e32 vcc_lo, s24, v3
	v_add_nc_u32_e32 v8, 1, v2
	v_cndmask_b32_e32 v106, v2, v8, vcc_lo
.LBB0_6:                                ;   in Loop: Header=BB0_2 Depth=1
	s_or_b32 exec_lo, exec_lo, s0
	v_mul_lo_u32 v8, v107, s24
	v_mul_lo_u32 v9, v106, s25
	s_load_dwordx2 s[0:1], s[6:7], 0x0
	v_mad_u64_u32 v[2:3], null, v106, s24, 0
	s_load_dwordx2 s[24:25], s[2:3], 0x0
	s_add_u32 s22, s22, 1
	s_addc_u32 s23, s23, 0
	s_add_u32 s2, s2, 8
	s_addc_u32 s3, s3, 0
	s_add_u32 s6, s6, 8
	v_add3_u32 v3, v3, v9, v8
	v_sub_co_u32 v2, vcc_lo, v6, v2
	s_addc_u32 s7, s7, 0
	s_add_u32 s20, s20, 8
	v_sub_co_ci_u32_e32 v3, vcc_lo, v7, v3, vcc_lo
	s_addc_u32 s21, s21, 0
	s_waitcnt lgkmcnt(0)
	v_mul_lo_u32 v6, s0, v3
	v_mul_lo_u32 v7, s1, v2
	v_mad_u64_u32 v[4:5], null, s0, v2, v[4:5]
	v_mul_lo_u32 v3, s24, v3
	v_mul_lo_u32 v8, s25, v2
	v_mad_u64_u32 v[104:105], null, s24, v2, v[104:105]
	v_cmp_ge_u64_e64 s0, s[22:23], s[14:15]
	v_add3_u32 v5, v7, v5, v6
	v_add3_u32 v105, v8, v105, v3
	s_and_b32 vcc_lo, exec_lo, s0
	s_cbranch_vccnz .LBB0_9
; %bb.7:                                ;   in Loop: Header=BB0_2 Depth=1
	v_mov_b32_e32 v6, v106
	v_mov_b32_e32 v7, v107
	s_branch .LBB0_2
.LBB0_8:
	v_mov_b32_e32 v105, v5
	v_mov_b32_e32 v107, v7
	;; [unrolled: 1-line block ×4, first 2 shown]
.LBB0_9:
	s_load_dwordx2 s[0:1], s[4:5], 0x28
	v_mul_hi_u32 v1, 0x2302303, v0
	s_lshl_b64 s[4:5], s[14:15], 3
                                        ; implicit-def: $vgpr112
	s_add_u32 s2, s18, s4
	s_addc_u32 s3, s19, s5
	s_waitcnt lgkmcnt(0)
	v_cmp_gt_u64_e32 vcc_lo, s[0:1], v[106:107]
	v_cmp_le_u64_e64 s0, s[0:1], v[106:107]
	s_and_saveexec_b32 s1, s0
	s_xor_b32 s0, exec_lo, s1
; %bb.10:
	v_mul_u32_u24_e32 v1, 0x75, v1
                                        ; implicit-def: $vgpr4_vgpr5
	v_sub_nc_u32_e32 v112, v0, v1
                                        ; implicit-def: $vgpr1
                                        ; implicit-def: $vgpr0
; %bb.11:
	s_or_saveexec_b32 s1, s0
	s_load_dwordx2 s[2:3], s[2:3], 0x0
                                        ; implicit-def: $vgpr6_vgpr7
                                        ; implicit-def: $vgpr10_vgpr11
                                        ; implicit-def: $vgpr14_vgpr15
                                        ; implicit-def: $vgpr26_vgpr27
                                        ; implicit-def: $vgpr34_vgpr35
                                        ; implicit-def: $vgpr18_vgpr19
                                        ; implicit-def: $vgpr22_vgpr23
                                        ; implicit-def: $vgpr30_vgpr31
                                        ; implicit-def: $vgpr38_vgpr39
                                        ; implicit-def: $vgpr42_vgpr43
                                        ; implicit-def: $vgpr46_vgpr47
                                        ; implicit-def: $vgpr50_vgpr51
                                        ; implicit-def: $vgpr2_vgpr3
                                        ; implicit-def: $vgpr54_vgpr55
                                        ; implicit-def: $vgpr58_vgpr59
                                        ; implicit-def: $vgpr62_vgpr63
                                        ; implicit-def: $vgpr74_vgpr75
                                        ; implicit-def: $vgpr82_vgpr83
                                        ; implicit-def: $vgpr70_vgpr71
                                        ; implicit-def: $vgpr78_vgpr79
                                        ; implicit-def: $vgpr86_vgpr87
                                        ; implicit-def: $vgpr90_vgpr91
                                        ; implicit-def: $vgpr94_vgpr95
                                        ; implicit-def: $vgpr98_vgpr99
                                        ; implicit-def: $vgpr102_vgpr103
                                        ; implicit-def: $vgpr66_vgpr67
	s_xor_b32 exec_lo, exec_lo, s1
	s_cbranch_execz .LBB0_15
; %bb.12:
	s_add_u32 s4, s16, s4
	s_addc_u32 s5, s17, s5
                                        ; implicit-def: $vgpr48_vgpr49
                                        ; implicit-def: $vgpr44_vgpr45
                                        ; implicit-def: $vgpr40_vgpr41
                                        ; implicit-def: $vgpr36_vgpr37
                                        ; implicit-def: $vgpr28_vgpr29
                                        ; implicit-def: $vgpr20_vgpr21
                                        ; implicit-def: $vgpr16_vgpr17
                                        ; implicit-def: $vgpr32_vgpr33
                                        ; implicit-def: $vgpr24_vgpr25
                                        ; implicit-def: $vgpr12_vgpr13
                                        ; implicit-def: $vgpr8_vgpr9
	s_load_dwordx2 s[4:5], s[4:5], 0x0
	s_waitcnt lgkmcnt(0)
	v_mul_lo_u32 v6, s5, v106
	v_mul_lo_u32 v7, s4, v107
	v_mad_u64_u32 v[2:3], null, s4, v106, 0
	s_mov_b32 s4, exec_lo
	v_add3_u32 v3, v3, v7, v6
	v_mul_u32_u24_e32 v6, 0x75, v1
	v_lshlrev_b64 v[1:2], 4, v[2:3]
	v_lshlrev_b64 v[3:4], 4, v[4:5]
	v_sub_nc_u32_e32 v112, v0, v6
	v_add_co_u32 v0, s0, s8, v1
	v_add_co_ci_u32_e64 v1, s0, s9, v2, s0
	v_lshlrev_b32_e32 v2, 4, v112
	v_add_co_u32 v0, s0, v0, v3
	v_add_co_ci_u32_e64 v1, s0, v1, v4, s0
                                        ; implicit-def: $vgpr4_vgpr5
	v_add_co_u32 v6, s0, v0, v2
	v_add_co_ci_u32_e64 v7, s0, 0, v1, s0
	v_add_co_u32 v22, s0, 0x800, v6
	v_add_co_ci_u32_e64 v23, s0, 0, v7, s0
	;; [unrolled: 2-line block ×12, first 2 shown]
	s_clause 0x7
	global_load_dwordx4 v[64:67], v[6:7], off
	global_load_dwordx4 v[100:103], v[22:23], off offset:112
	global_load_dwordx4 v[96:99], v[0:1], off offset:224
	global_load_dwordx4 v[92:95], v[42:43], off offset:336
	global_load_dwordx4 v[88:91], v[38:39], off offset:448
	global_load_dwordx4 v[84:87], v[30:31], off offset:560
	global_load_dwordx4 v[76:79], v[26:27], off offset:672
	global_load_dwordx4 v[68:71], v[18:19], off offset:784
	v_add_co_u32 v110, s0, 0x6000, v6
	v_add_co_ci_u32_e64 v111, s0, 0, v7, s0
	s_clause 0x4
	global_load_dwordx4 v[80:83], v[34:35], off offset:896
	global_load_dwordx4 v[72:75], v[10:11], off offset:1008
	;; [unrolled: 1-line block ×5, first 2 shown]
                                        ; implicit-def: $vgpr0_vgpr1
	v_cmpx_gt_u32_e32 18, v112
; %bb.13:
	s_clause 0x7
	global_load_dwordx4 v[0:3], v[6:7], off offset:1872
	global_load_dwordx4 v[48:51], v[22:23], off offset:1984
	;; [unrolled: 1-line block ×8, first 2 shown]
	v_add_co_u32 v4, s0, 0x6800, v6
	v_add_co_ci_u32_e64 v5, s0, 0, v7, s0
	s_clause 0x4
	global_load_dwordx4 v[32:35], v[10:11], off offset:720
	global_load_dwordx4 v[24:27], v[14:15], off offset:832
	;; [unrolled: 1-line block ×5, first 2 shown]
; %bb.14:
	s_or_b32 exec_lo, exec_lo, s4
.LBB0_15:
	s_or_b32 exec_lo, exec_lo, s1
	s_waitcnt vmcnt(11)
	v_add_f64 v[108:109], v[100:101], v[64:65]
	s_waitcnt vmcnt(0)
	v_add_f64 v[110:111], v[52:53], v[100:101]
	s_mov_b32 s4, 0xe00740e9
	s_mov_b32 s6, 0x1ea71119
	;; [unrolled: 1-line block ×11, first 2 shown]
	v_add_f64 v[113:114], v[102:103], -v[54:55]
	v_add_f64 v[115:116], v[56:57], v[96:97]
	s_mov_b32 s21, 0xbfef11f4
	s_mov_b32 s18, 0x4267c47c
	;; [unrolled: 1-line block ×7, first 2 shown]
	v_add_f64 v[108:109], v[96:97], v[108:109]
	v_mul_f64 v[135:136], v[110:111], s[4:5]
	v_mul_f64 v[137:138], v[110:111], s[6:7]
	v_mul_f64 v[139:140], v[110:111], s[8:9]
	v_mul_f64 v[141:142], v[110:111], s[14:15]
	v_mul_f64 v[143:144], v[110:111], s[16:17]
	v_mul_f64 v[110:111], v[110:111], s[20:21]
	s_mov_b32 s27, 0x3fefc445
	s_mov_b32 s34, 0x2ef20147
	;; [unrolled: 1-line block ×14, first 2 shown]
	v_add_f64 v[117:118], v[98:99], -v[58:59]
	v_add_f64 v[108:109], v[92:93], v[108:109]
	v_add_f64 v[119:120], v[60:61], v[92:93]
	s_mov_b32 s38, s44
	s_mov_b32 s40, s42
	v_mul_f64 v[145:146], v[115:116], s[6:7]
	v_mul_f64 v[147:148], v[115:116], s[14:15]
	;; [unrolled: 1-line block ×3, first 2 shown]
	v_fma_f64 v[195:196], v[113:114], s[18:19], v[135:136]
	v_fma_f64 v[197:198], v[113:114], s[22:23], v[137:138]
	;; [unrolled: 1-line block ×4, first 2 shown]
	v_mul_f64 v[151:152], v[115:116], s[16:17]
	v_mul_f64 v[153:154], v[115:116], s[8:9]
	v_fma_f64 v[139:140], v[113:114], s[30:31], v[139:140]
	v_fma_f64 v[201:202], v[113:114], s[34:35], v[141:142]
	;; [unrolled: 1-line block ×4, first 2 shown]
	v_mul_f64 v[115:116], v[115:116], s[4:5]
	v_fma_f64 v[143:144], v[113:114], s[38:39], v[143:144]
	v_fma_f64 v[205:206], v[113:114], s[42:43], v[110:111]
	;; [unrolled: 1-line block ×3, first 2 shown]
	s_mov_b32 s29, 0xbfddbe06
	v_add_f64 v[108:109], v[88:89], v[108:109]
	s_mov_b32 s28, s18
	v_add_f64 v[121:122], v[94:95], -v[62:63]
	v_fma_f64 v[135:136], v[113:114], s[28:29], v[135:136]
	v_add_f64 v[123:124], v[72:73], v[88:89]
	v_mul_f64 v[155:156], v[119:120], s[8:9]
	v_mul_f64 v[157:158], v[119:120], s[20:21]
	;; [unrolled: 1-line block ×3, first 2 shown]
	v_fma_f64 v[113:114], v[117:118], s[22:23], v[145:146]
	v_fma_f64 v[207:208], v[117:118], s[34:35], v[147:148]
	v_fma_f64 v[147:148], v[117:118], s[36:37], v[147:148]
	v_fma_f64 v[209:210], v[117:118], s[42:43], v[149:150]
	v_add_f64 v[195:196], v[64:65], v[195:196]
	v_add_f64 v[197:198], v[64:65], v[197:198]
	v_add_f64 v[137:138], v[64:65], v[137:138]
	v_add_f64 v[199:200], v[64:65], v[199:200]
	v_mul_f64 v[161:162], v[119:120], s[4:5]
	v_mul_f64 v[163:164], v[119:120], s[6:7]
	v_fma_f64 v[149:150], v[117:118], s[40:41], v[149:150]
	v_fma_f64 v[211:212], v[117:118], s[38:39], v[151:152]
	;; [unrolled: 1-line block ×4, first 2 shown]
	v_add_f64 v[108:109], v[84:85], v[108:109]
	v_add_f64 v[139:140], v[64:65], v[139:140]
	v_add_f64 v[201:202], v[64:65], v[201:202]
	v_add_f64 v[141:142], v[64:65], v[141:142]
	v_add_f64 v[203:204], v[64:65], v[203:204]
	v_mul_f64 v[119:120], v[119:120], s[16:17]
	v_fma_f64 v[153:154], v[117:118], s[26:27], v[153:154]
	v_fma_f64 v[215:216], v[117:118], s[28:29], v[115:116]
	;; [unrolled: 1-line block ×3, first 2 shown]
	v_add_f64 v[143:144], v[64:65], v[143:144]
	v_add_f64 v[205:206], v[64:65], v[205:206]
	v_add_f64 v[110:111], v[64:65], v[110:111]
	v_fma_f64 v[145:146], v[117:118], s[24:25], v[145:146]
	v_add_f64 v[64:65], v[64:65], v[135:136]
	v_add_f64 v[125:126], v[90:91], -v[74:75]
	v_add_f64 v[127:128], v[80:81], v[84:85]
	v_mul_f64 v[165:166], v[123:124], s[14:15]
	v_mul_f64 v[167:168], v[123:124], s[16:17]
	;; [unrolled: 1-line block ×3, first 2 shown]
	v_fma_f64 v[117:118], v[121:122], s[26:27], v[155:156]
	v_fma_f64 v[217:218], v[121:122], s[42:43], v[157:158]
	;; [unrolled: 1-line block ×3, first 2 shown]
	v_add_f64 v[108:109], v[76:77], v[108:109]
	v_fma_f64 v[219:220], v[121:122], s[36:37], v[159:160]
	v_add_f64 v[113:114], v[113:114], v[195:196]
	v_add_f64 v[195:196], v[207:208], v[197:198]
	;; [unrolled: 1-line block ×4, first 2 shown]
	v_mul_f64 v[171:172], v[123:124], s[8:9]
	v_mul_f64 v[173:174], v[123:124], s[20:21]
	v_fma_f64 v[159:160], v[121:122], s[34:35], v[159:160]
	v_fma_f64 v[221:222], v[121:122], s[28:29], v[161:162]
	;; [unrolled: 1-line block ×3, first 2 shown]
	v_add_f64 v[139:140], v[149:150], v[139:140]
	v_add_f64 v[149:150], v[211:212], v[201:202]
	;; [unrolled: 1-line block ×4, first 2 shown]
	v_mul_f64 v[123:124], v[123:124], s[6:7]
	v_fma_f64 v[161:162], v[121:122], s[18:19], v[161:162]
	v_fma_f64 v[163:164], v[121:122], s[24:25], v[163:164]
	;; [unrolled: 1-line block ×4, first 2 shown]
	v_add_f64 v[143:144], v[153:154], v[143:144]
	v_add_f64 v[153:154], v[215:216], v[205:206]
	;; [unrolled: 1-line block ×4, first 2 shown]
	v_fma_f64 v[155:156], v[121:122], s[30:31], v[155:156]
	v_add_f64 v[64:65], v[145:146], v[64:65]
	v_add_f64 v[129:130], v[86:87], -v[82:83]
	v_add_f64 v[131:132], v[68:69], v[76:77]
	v_mul_f64 v[177:178], v[127:128], s[8:9]
	v_mul_f64 v[179:180], v[127:128], s[6:7]
	v_fma_f64 v[121:122], v[125:126], s[34:35], v[165:166]
	v_fma_f64 v[135:136], v[125:126], s[36:37], v[165:166]
	;; [unrolled: 1-line block ×5, first 2 shown]
	v_add_f64 v[113:114], v[117:118], v[113:114]
	v_add_f64 v[117:118], v[217:218], v[195:196]
	;; [unrolled: 1-line block ×4, first 2 shown]
	v_mul_f64 v[175:176], v[127:128], s[16:17]
	v_mul_f64 v[181:182], v[127:128], s[20:21]
	;; [unrolled: 1-line block ×3, first 2 shown]
	v_fma_f64 v[115:116], v[125:126], s[18:19], v[169:170]
	v_fma_f64 v[169:170], v[125:126], s[26:27], v[171:172]
	v_add_f64 v[108:109], v[80:81], v[108:109]
	v_fma_f64 v[197:198], v[125:126], s[40:41], v[173:174]
	v_add_f64 v[139:140], v[159:160], v[139:140]
	v_add_f64 v[149:150], v[221:222], v[149:150]
	v_add_f64 v[151:152], v[223:224], v[151:152]
	v_mul_f64 v[127:128], v[127:128], s[14:15]
	v_fma_f64 v[171:172], v[125:126], s[30:31], v[171:172]
	v_fma_f64 v[173:174], v[125:126], s[42:43], v[173:174]
	;; [unrolled: 1-line block ×4, first 2 shown]
	v_add_f64 v[141:142], v[161:162], v[141:142]
	v_add_f64 v[143:144], v[163:164], v[143:144]
	;; [unrolled: 1-line block ×5, first 2 shown]
	v_add_f64 v[133:134], v[78:79], -v[70:71]
	v_mul_f64 v[187:188], v[131:132], s[4:5]
	v_mul_f64 v[189:190], v[131:132], s[16:17]
	v_fma_f64 v[199:200], v[129:130], s[30:31], v[177:178]
	v_fma_f64 v[119:120], v[129:130], s[26:27], v[177:178]
	;; [unrolled: 1-line block ×3, first 2 shown]
	v_add_f64 v[113:114], v[121:122], v[113:114]
	v_add_f64 v[108:109], v[72:73], v[108:109]
	;; [unrolled: 1-line block ×5, first 2 shown]
	v_mul_f64 v[185:186], v[131:132], s[20:21]
	v_mul_f64 v[191:192], v[131:132], s[6:7]
	;; [unrolled: 1-line block ×3, first 2 shown]
	v_fma_f64 v[125:126], v[129:130], s[44:45], v[175:176]
	v_fma_f64 v[161:162], v[129:130], s[40:41], v[181:182]
	;; [unrolled: 1-line block ×3, first 2 shown]
	v_add_f64 v[115:116], v[115:116], v[139:140]
	v_add_f64 v[139:140], v[169:170], v[149:150]
	;; [unrolled: 1-line block ×3, first 2 shown]
	v_fma_f64 v[159:160], v[129:130], s[24:25], v[179:180]
	v_fma_f64 v[163:164], v[129:130], s[42:43], v[181:182]
	;; [unrolled: 1-line block ×5, first 2 shown]
	v_add_f64 v[141:142], v[171:172], v[141:142]
	v_add_f64 v[143:144], v[173:174], v[143:144]
	v_add_f64 v[145:146], v[145:146], v[153:154]
	v_add_f64 v[110:111], v[123:124], v[110:111]
	v_mul_f64 v[123:124], v[131:132], s[8:9]
	v_add_f64 v[108:109], v[60:61], v[108:109]
	v_fma_f64 v[129:130], v[129:130], s[38:39], v[175:176]
	v_add_f64 v[64:65], v[135:136], v[64:65]
	v_fma_f64 v[149:150], v[133:134], s[28:29], v[187:188]
	v_fma_f64 v[135:136], v[133:134], s[44:45], v[189:190]
	v_add_f64 v[117:118], v[199:200], v[117:118]
	v_add_f64 v[119:120], v[119:120], v[121:122]
	;; [unrolled: 1-line block ×3, first 2 shown]
	v_fma_f64 v[131:132], v[133:134], s[42:43], v[185:186]
	v_fma_f64 v[153:154], v[133:134], s[24:25], v[191:192]
	;; [unrolled: 1-line block ×3, first 2 shown]
	v_add_f64 v[113:114], v[125:126], v[113:114]
	v_add_f64 v[125:126], v[161:162], v[139:140]
	;; [unrolled: 1-line block ×3, first 2 shown]
	v_fma_f64 v[165:166], v[133:134], s[22:23], v[191:192]
	v_fma_f64 v[151:152], v[133:134], s[18:19], v[187:188]
	v_add_f64 v[115:116], v[159:160], v[115:116]
	v_add_f64 v[137:138], v[163:164], v[141:142]
	;; [unrolled: 1-line block ×5, first 2 shown]
	v_fma_f64 v[127:128], v[133:134], s[30:31], v[123:124]
	v_fma_f64 v[123:124], v[133:134], s[26:27], v[123:124]
	;; [unrolled: 1-line block ×4, first 2 shown]
	v_add_f64 v[108:109], v[56:57], v[108:109]
	v_fma_f64 v[133:134], v[133:134], s[40:41], v[185:186]
	v_add_f64 v[64:65], v[129:130], v[64:65]
	v_add_f64 v[117:118], v[149:150], v[117:118]
	;; [unrolled: 1-line block ×3, first 2 shown]
	v_cmp_gt_u32_e64 s0, 18, v112
	v_add_f64 v[113:114], v[131:132], v[113:114]
	v_add_f64 v[125:126], v[153:154], v[125:126]
	;; [unrolled: 1-line block ×10, first 2 shown]
	v_mad_u32_u24 v108, 0x68, v112, 0
	v_add_f64 v[64:65], v[133:134], v[64:65]
	ds_write2_b64 v108, v[117:118], v[121:122] offset0:2 offset1:3
	ds_write2_b64 v108, v[125:126], v[131:132] offset0:4 offset1:5
	;; [unrolled: 1-line block ×5, first 2 shown]
	ds_write2_b64 v108, v[135:136], v[113:114] offset1:1
	ds_write_b64 v108, v[64:65] offset:96
	s_and_saveexec_b32 s1, s0
	s_cbranch_execz .LBB0_17
; %bb.16:
	v_add_f64 v[64:65], v[48:49], v[0:1]
	v_add_f64 v[121:122], v[50:51], -v[6:7]
	v_add_f64 v[117:118], v[42:43], -v[14:15]
	;; [unrolled: 1-line block ×3, first 2 shown]
	v_add_f64 v[133:134], v[4:5], v[48:49]
	v_add_f64 v[129:130], v[12:13], v[40:41]
	;; [unrolled: 1-line block ×3, first 2 shown]
	v_add_f64 v[115:116], v[38:39], -v[26:27]
	v_add_f64 v[113:114], v[30:31], -v[34:35]
	v_add_f64 v[127:128], v[24:25], v[36:37]
	v_add_f64 v[109:110], v[22:23], -v[18:19]
	v_add_f64 v[125:126], v[32:33], v[28:29]
	v_add_f64 v[123:124], v[16:17], v[20:21]
	v_add_nc_u32_e32 v111, 0x2f88, v108
	v_add_f64 v[64:65], v[44:45], v[64:65]
	v_mul_f64 v[145:146], v[121:122], s[40:41]
	v_mul_f64 v[157:158], v[121:122], s[38:39]
	;; [unrolled: 1-line block ×21, first 2 shown]
	v_add_f64 v[64:65], v[40:41], v[64:65]
	v_fma_f64 v[205:206], v[133:134], s[20:21], v[145:146]
	v_fma_f64 v[145:146], v[133:134], s[20:21], -v[145:146]
	v_fma_f64 v[215:216], v[133:134], s[16:17], v[157:158]
	v_fma_f64 v[157:158], v[133:134], s[16:17], -v[157:158]
	;; [unrolled: 2-line block ×3, first 2 shown]
	v_fma_f64 v[221:222], v[133:134], s[6:7], -v[193:194]
	v_fma_f64 v[169:170], v[133:134], s[14:15], -v[169:170]
	v_fma_f64 v[181:182], v[133:134], s[8:9], v[181:182]
	v_fma_f64 v[193:194], v[133:134], s[6:7], v[193:194]
	v_fma_f64 v[223:224], v[133:134], s[4:5], -v[121:122]
	v_fma_f64 v[121:122], v[133:134], s[4:5], v[121:122]
	v_fma_f64 v[203:204], v[131:132], s[4:5], v[143:144]
	;; [unrolled: 3-line block ×3, first 2 shown]
	v_fma_f64 v[133:134], v[131:132], s[8:9], -v[155:156]
	v_fma_f64 v[155:156], v[131:132], s[16:17], v[167:168]
	v_fma_f64 v[167:168], v[131:132], s[16:17], -v[167:168]
	v_fma_f64 v[225:226], v[131:132], s[20:21], v[179:180]
	v_fma_f64 v[179:180], v[131:132], s[20:21], -v[179:180]
	v_add_f64 v[64:65], v[36:37], v[64:65]
	v_fma_f64 v[227:228], v[131:132], s[14:15], v[191:192]
	v_fma_f64 v[191:192], v[131:132], s[14:15], -v[191:192]
	v_fma_f64 v[229:230], v[131:132], s[6:7], v[119:120]
	v_fma_f64 v[119:120], v[131:132], s[6:7], -v[119:120]
	v_fma_f64 v[131:132], v[129:130], s[6:7], -v[153:154]
	v_add_f64 v[153:154], v[0:1], v[205:206]
	v_add_f64 v[145:146], v[0:1], v[145:146]
	;; [unrolled: 1-line block ×12, first 2 shown]
	v_mul_f64 v[175:176], v[115:116], s[18:19]
	v_mul_f64 v[187:188], v[115:116], s[44:45]
	v_mul_f64 v[115:116], v[115:116], s[36:37]
	v_fma_f64 v[201:202], v[129:130], s[16:17], v[141:142]
	v_add_f64 v[64:65], v[28:29], v[64:65]
	v_fma_f64 v[141:142], v[129:130], s[16:17], -v[141:142]
	v_fma_f64 v[121:122], v[129:130], s[4:5], v[165:166]
	v_fma_f64 v[223:224], v[129:130], s[14:15], v[177:178]
	v_fma_f64 v[177:178], v[129:130], s[14:15], -v[177:178]
	v_fma_f64 v[231:232], v[129:130], s[20:21], v[189:190]
	v_fma_f64 v[189:190], v[129:130], s[20:21], -v[189:190]
	v_add_f64 v[153:154], v[203:204], v[153:154]
	v_add_f64 v[143:144], v[143:144], v[145:146]
	v_add_f64 v[145:146], v[213:214], v[205:206]
	v_add_f64 v[133:134], v[133:134], v[157:158]
	v_add_f64 v[155:156], v[155:156], v[215:216]
	v_add_f64 v[157:158], v[179:180], v[217:218]
	v_add_f64 v[179:180], v[191:192], v[219:220]
	v_fma_f64 v[165:166], v[129:130], s[4:5], -v[165:166]
	v_add_f64 v[167:168], v[167:168], v[169:170]
	v_add_f64 v[169:170], v[225:226], v[181:182]
	;; [unrolled: 1-line block ×3, first 2 shown]
	v_fma_f64 v[233:234], v[129:130], s[8:9], v[117:118]
	v_fma_f64 v[117:118], v[129:130], s[8:9], -v[117:118]
	v_add_f64 v[119:120], v[119:120], v[221:222]
	v_add_f64 v[0:1], v[229:230], v[0:1]
	;; [unrolled: 1-line block ×3, first 2 shown]
	v_mul_f64 v[137:138], v[113:114], s[36:37]
	v_mul_f64 v[149:150], v[113:114], s[18:19]
	v_mul_f64 v[161:162], v[113:114], s[42:43]
	v_mul_f64 v[173:174], v[113:114], s[24:25]
	v_mul_f64 v[185:186], v[113:114], s[26:27]
	v_mul_f64 v[113:114], v[113:114], s[38:39]
	v_fma_f64 v[199:200], v[127:128], s[6:7], v[139:140]
	v_fma_f64 v[139:140], v[127:128], s[6:7], -v[139:140]
	v_fma_f64 v[129:130], v[127:128], s[20:21], v[151:152]
	v_fma_f64 v[151:152], v[127:128], s[20:21], -v[151:152]
	;; [unrolled: 2-line block ×6, first 2 shown]
	v_add_f64 v[127:128], v[201:202], v[153:154]
	v_add_f64 v[141:142], v[141:142], v[143:144]
	;; [unrolled: 1-line block ×13, first 2 shown]
	v_mul_f64 v[135:136], v[109:110], s[26:27]
	v_mul_f64 v[147:148], v[109:110], s[36:37]
	;; [unrolled: 1-line block ×6, first 2 shown]
	v_fma_f64 v[197:198], v[125:126], s[14:15], v[137:138]
	v_fma_f64 v[137:138], v[125:126], s[14:15], -v[137:138]
	v_fma_f64 v[209:210], v[125:126], s[4:5], v[149:150]
	v_fma_f64 v[119:120], v[125:126], s[4:5], -v[149:150]
	;; [unrolled: 2-line block ×3, first 2 shown]
	v_add_f64 v[64:65], v[32:33], v[64:65]
	v_fma_f64 v[165:166], v[125:126], s[6:7], v[173:174]
	v_fma_f64 v[167:168], v[125:126], s[6:7], -v[173:174]
	v_fma_f64 v[169:170], v[125:126], s[8:9], v[185:186]
	v_fma_f64 v[173:174], v[125:126], s[8:9], -v[185:186]
	;; [unrolled: 2-line block ×3, first 2 shown]
	v_add_f64 v[125:126], v[199:200], v[127:128]
	v_add_f64 v[127:128], v[139:140], v[141:142]
	;; [unrolled: 1-line block ×12, first 2 shown]
	v_fma_f64 v[195:196], v[123:124], s[8:9], v[135:136]
	v_fma_f64 v[135:136], v[123:124], s[8:9], -v[135:136]
	v_fma_f64 v[207:208], v[123:124], s[14:15], v[147:148]
	v_add_f64 v[64:65], v[24:25], v[64:65]
	v_fma_f64 v[117:118], v[123:124], s[14:15], -v[147:148]
	v_fma_f64 v[147:148], v[123:124], s[6:7], v[159:160]
	v_fma_f64 v[151:152], v[123:124], s[6:7], -v[159:160]
	v_fma_f64 v[153:154], v[123:124], s[16:17], v[171:172]
	;; [unrolled: 2-line block ×4, first 2 shown]
	v_fma_f64 v[109:110], v[123:124], s[20:21], -v[109:110]
	v_add_f64 v[123:124], v[197:198], v[125:126]
	v_add_f64 v[125:126], v[137:138], v[127:128]
	v_add_f64 v[127:128], v[209:210], v[129:130]
	v_add_f64 v[119:120], v[119:120], v[131:132]
	v_add_f64 v[121:122], v[149:150], v[121:122]
	v_add_f64 v[129:130], v[167:168], v[133:134]
	v_add_f64 v[131:132], v[173:174], v[139:140]
	v_add_f64 v[133:134], v[161:162], v[141:142]
	v_add_f64 v[137:138], v[165:166], v[143:144]
	v_add_f64 v[139:140], v[169:170], v[145:146]
	v_add_f64 v[113:114], v[113:114], v[115:116]
	v_add_f64 v[0:1], v[177:178], v[0:1]
	v_add_f64 v[64:65], v[12:13], v[64:65]
	v_add_f64 v[115:116], v[195:196], v[123:124]
	v_add_f64 v[123:124], v[135:136], v[125:126]
	v_add_f64 v[125:126], v[207:208], v[127:128]
	v_add_f64 v[117:118], v[117:118], v[119:120]
	v_add_f64 v[119:120], v[147:148], v[121:122]
	v_add_f64 v[121:122], v[155:156], v[129:130]
	v_add_f64 v[127:128], v[159:160], v[131:132]
	v_add_f64 v[129:130], v[151:152], v[133:134]
	v_add_f64 v[131:132], v[153:154], v[137:138]
	v_add_f64 v[133:134], v[157:158], v[139:140]
	v_add_f64 v[109:110], v[109:110], v[113:114]
	v_add_f64 v[0:1], v[163:164], v[0:1]
	v_add_f64 v[64:65], v[8:9], v[64:65]
	v_add_nc_u32_e32 v113, 0x2f98, v108
	v_add_nc_u32_e32 v114, 0x2fa8, v108
	;; [unrolled: 1-line block ×5, first 2 shown]
	v_add_f64 v[64:65], v[4:5], v[64:65]
	ds_write2_b64 v113, v[127:128], v[121:122] offset1:1
	ds_write2_b64 v114, v[129:130], v[117:118] offset1:1
	;; [unrolled: 1-line block ×6, first 2 shown]
	ds_write_b64 v108, v[0:1] offset:12264
.LBB0_17:
	s_or_b32 exec_lo, exec_lo, s1
	v_add_f64 v[0:1], v[102:103], v[66:67]
	v_add_f64 v[52:53], v[100:101], -v[52:53]
	v_add_f64 v[64:65], v[54:55], v[102:103]
	v_add_f64 v[56:57], v[96:97], -v[56:57]
	v_add_f64 v[102:103], v[62:63], v[94:95]
	v_add_f64 v[60:61], v[92:93], -v[60:61]
	v_add_f64 v[100:101], v[58:59], v[98:99]
	v_add_f64 v[72:73], v[88:89], -v[72:73]
	v_add_f64 v[88:89], v[82:83], v[86:87]
	v_add_f64 v[109:110], v[70:71], v[78:79]
	v_add_f64 v[68:69], v[76:77], -v[68:69]
	v_add_f64 v[92:93], v[74:75], v[90:91]
	v_add_f64 v[84:85], v[84:85], -v[80:81]
	v_mad_i32_i24 v80, 0xffffffa0, v112, v108
	s_waitcnt lgkmcnt(0)
	s_barrier
	buffer_gl0_inv
	v_add_nc_u32_e32 v76, 0xc00, v80
	v_add_f64 v[0:1], v[98:99], v[0:1]
	v_mul_f64 v[113:114], v[52:53], s[24:25]
	v_mul_f64 v[115:116], v[52:53], s[30:31]
	;; [unrolled: 1-line block ×21, first 2 shown]
	v_add_f64 v[0:1], v[94:95], v[0:1]
	v_mul_f64 v[94:95], v[52:53], s[28:29]
	v_mul_f64 v[52:53], v[52:53], s[40:41]
	v_fma_f64 v[171:172], v[64:65], s[6:7], v[113:114]
	v_fma_f64 v[113:114], v[64:65], s[6:7], -v[113:114]
	v_fma_f64 v[173:174], v[64:65], s[8:9], v[115:116]
	v_fma_f64 v[175:176], v[64:65], s[16:17], v[119:120]
	v_fma_f64 v[119:120], v[64:65], s[16:17], -v[119:120]
	v_fma_f64 v[179:180], v[100:101], s[14:15], v[123:124]
	v_fma_f64 v[123:124], v[100:101], s[14:15], -v[123:124]
	;; [unrolled: 2-line block ×8, first 2 shown]
	v_add_f64 v[0:1], v[90:91], v[0:1]
	v_fma_f64 v[169:170], v[64:65], s[4:5], v[94:95]
	v_fma_f64 v[177:178], v[64:65], s[20:21], v[52:53]
	v_fma_f64 v[52:53], v[64:65], s[20:21], -v[52:53]
	v_fma_f64 v[94:95], v[64:65], s[4:5], -v[94:95]
	v_fma_f64 v[193:194], v[102:103], s[6:7], v[139:140]
	v_fma_f64 v[139:140], v[102:103], s[6:7], -v[139:140]
	v_fma_f64 v[195:196], v[102:103], s[16:17], v[60:61]
	v_fma_f64 v[60:61], v[102:103], s[16:17], -v[60:61]
	v_add_f64 v[113:114], v[66:67], v[113:114]
	v_add_f64 v[119:120], v[66:67], v[119:120]
	v_mul_f64 v[90:91], v[72:73], s[18:19]
	v_mul_f64 v[72:73], v[72:73], s[22:23]
	;; [unrolled: 1-line block ×7, first 2 shown]
	v_fma_f64 v[197:198], v[92:93], s[8:9], v[145:146]
	v_fma_f64 v[145:146], v[92:93], s[8:9], -v[145:146]
	v_fma_f64 v[199:200], v[92:93], s[20:21], v[147:148]
	v_mul_f64 v[159:160], v[68:69], s[40:41]
	v_add_f64 v[0:1], v[86:87], v[0:1]
	v_fma_f64 v[86:87], v[64:65], s[8:9], -v[115:116]
	v_fma_f64 v[115:116], v[64:65], s[14:15], v[117:118]
	v_fma_f64 v[117:118], v[64:65], s[14:15], -v[117:118]
	v_fma_f64 v[64:65], v[100:101], s[6:7], v[121:122]
	v_fma_f64 v[121:122], v[100:101], s[6:7], -v[121:122]
	v_fma_f64 v[100:101], v[102:103], s[8:9], v[131:132]
	v_fma_f64 v[131:132], v[102:103], s[8:9], -v[131:132]
	v_add_f64 v[52:53], v[66:67], v[52:53]
	v_add_f64 v[113:114], v[123:124], v[113:114]
	v_mul_f64 v[161:162], v[68:69], s[18:19]
	v_mul_f64 v[163:164], v[68:69], s[38:39]
	;; [unrolled: 1-line block ×5, first 2 shown]
	ds_read2_b64 v[96:99], v80 offset1:117
	v_add_f64 v[0:1], v[78:79], v[0:1]
	v_fma_f64 v[77:78], v[102:103], s[20:21], v[133:134]
	v_fma_f64 v[133:134], v[102:103], s[20:21], -v[133:134]
	v_add_f64 v[102:103], v[66:67], v[169:170]
	v_add_f64 v[169:170], v[66:67], v[171:172]
	;; [unrolled: 1-line block ×11, first 2 shown]
	v_fma_f64 v[94:95], v[92:93], s[14:15], -v[141:142]
	v_fma_f64 v[177:178], v[92:93], s[4:5], v[90:91]
	v_fma_f64 v[90:91], v[92:93], s[4:5], -v[90:91]
	v_fma_f64 v[119:120], v[92:93], s[6:7], v[72:73]
	v_fma_f64 v[72:73], v[92:93], s[6:7], -v[72:73]
	v_fma_f64 v[129:130], v[88:89], s[8:9], -v[151:152]
	v_add_nc_u32_e32 v79, 0x2400, v80
	v_add_f64 v[0:1], v[70:71], v[0:1]
	v_fma_f64 v[70:71], v[92:93], s[14:15], v[141:142]
	v_fma_f64 v[141:142], v[92:93], s[16:17], v[143:144]
	v_add_f64 v[64:65], v[64:65], v[102:103]
	v_add_f64 v[102:103], v[179:180], v[169:170]
	;; [unrolled: 1-line block ×9, first 2 shown]
	v_fma_f64 v[143:144], v[92:93], s[16:17], -v[143:144]
	v_add_f64 v[52:53], v[60:61], v[52:53]
	v_add_f64 v[56:57], v[139:140], v[56:57]
	v_fma_f64 v[125:126], v[88:89], s[8:9], v[151:152]
	v_fma_f64 v[121:122], v[88:89], s[16:17], -v[149:150]
	v_fma_f64 v[139:140], v[109:110], s[14:15], v[167:168]
	v_add_f64 v[0:1], v[82:83], v[0:1]
	v_fma_f64 v[81:82], v[92:93], s[20:21], -v[147:148]
	v_fma_f64 v[92:93], v[88:89], s[16:17], v[149:150]
	v_add_f64 v[64:65], v[100:101], v[64:65]
	v_add_f64 v[77:78], v[77:78], v[102:103]
	;; [unrolled: 1-line block ×10, first 2 shown]
	v_fma_f64 v[147:148], v[88:89], s[6:7], v[153:154]
	v_fma_f64 v[149:150], v[88:89], s[6:7], -v[153:154]
	v_fma_f64 v[86:87], v[88:89], s[20:21], -v[155:156]
	v_fma_f64 v[127:128], v[88:89], s[4:5], v[157:158]
	v_fma_f64 v[133:134], v[88:89], s[14:15], v[84:85]
	v_fma_f64 v[83:84], v[88:89], s[14:15], -v[84:85]
	v_add_f64 v[52:53], v[72:73], v[52:53]
	v_fma_f64 v[131:132], v[88:89], s[4:5], -v[157:158]
	v_fma_f64 v[137:138], v[109:110], s[4:5], v[161:162]
	v_add_f64 v[0:1], v[74:75], v[0:1]
	v_fma_f64 v[74:75], v[88:89], s[20:21], v[155:156]
	v_add_f64 v[56:57], v[81:82], v[56:57]
	v_add_f64 v[64:65], v[70:71], v[64:65]
	;; [unrolled: 1-line block ×10, first 2 shown]
	v_fma_f64 v[88:89], v[109:110], s[20:21], v[159:160]
	v_fma_f64 v[90:91], v[109:110], s[16:17], v[163:164]
	v_fma_f64 v[135:136], v[109:110], s[20:21], -v[159:160]
	v_fma_f64 v[72:73], v[109:110], s[4:5], -v[161:162]
	v_fma_f64 v[119:120], v[109:110], s[6:7], v[165:166]
	v_fma_f64 v[123:124], v[109:110], s[6:7], -v[165:166]
	v_fma_f64 v[141:142], v[109:110], s[14:15], -v[167:168]
	v_fma_f64 v[143:144], v[109:110], s[8:9], v[68:69]
	v_fma_f64 v[68:69], v[109:110], s[8:9], -v[68:69]
	v_add_f64 v[52:53], v[83:84], v[52:53]
	v_add_f64 v[0:1], v[62:63], v[0:1]
	;; [unrolled: 1-line block ×3, first 2 shown]
	v_fma_f64 v[94:95], v[109:110], s[16:17], -v[163:164]
	v_add_f64 v[92:93], v[92:93], v[64:65]
	v_add_f64 v[70:71], v[125:126], v[70:71]
	;; [unrolled: 1-line block ×10, first 2 shown]
	v_add_nc_u32_e32 v78, 0x400, v80
	v_add_nc_u32_e32 v82, 0x2800, v80
	;; [unrolled: 1-line block ×5, first 2 shown]
	v_add_f64 v[125:126], v[58:59], v[0:1]
	v_add_f64 v[121:122], v[121:122], v[62:63]
	ds_read_b64 v[0:1], v80 offset:13104
	ds_read2_b64 v[56:59], v76 offset0:84 offset1:201
	ds_read2_b64 v[64:67], v79 offset0:18 offset1:135
	;; [unrolled: 1-line block ×3, first 2 shown]
	v_add_f64 v[87:88], v[88:89], v[92:93]
	v_add_f64 v[92:93], v[137:138], v[70:71]
	;; [unrolled: 1-line block ×12, first 2 shown]
	ds_read2_b64 v[52:55], v78 offset0:106 offset1:223
	ds_read2_b64 v[72:75], v82 offset0:124 offset1:241
	;; [unrolled: 1-line block ×3, first 2 shown]
	v_add_f64 v[121:122], v[135:136], v[121:122]
	s_waitcnt lgkmcnt(0)
	s_barrier
	buffer_gl0_inv
	ds_write2_b64 v108, v[92:93], v[89:90] offset0:2 offset1:3
	ds_write2_b64 v108, v[100:101], v[102:103] offset0:4 offset1:5
	;; [unrolled: 1-line block ×5, first 2 shown]
	ds_write2_b64 v108, v[117:118], v[87:88] offset1:1
	ds_write_b64 v108, v[121:122] offset:96
	s_and_saveexec_b32 s33, s0
	s_cbranch_execz .LBB0_19
; %bb.18:
	v_add_f64 v[84:85], v[50:51], v[2:3]
	v_add_f64 v[4:5], v[48:49], -v[4:5]
	v_add_f64 v[16:17], v[20:21], -v[16:17]
	s_mov_b32 s22, 0x42a4c3d2
	s_mov_b32 s24, 0x66966769
	s_mov_b32 s19, 0xbfddbe06
	s_mov_b32 s18, 0x4267c47c
	s_mov_b32 s23, 0xbfea55e2
	s_mov_b32 s25, 0xbfefc445
	s_mov_b32 s20, 0x2ef20147
	s_mov_b32 s26, 0x24c2f84
	s_mov_b32 s21, 0xbfedeba7
	s_mov_b32 s27, 0xbfe5384d
	s_mov_b32 s30, 0x4bc48dbf
	v_add_f64 v[50:51], v[6:7], v[50:51]
	s_mov_b32 s31, 0xbfcea1e5
	v_add_f64 v[8:9], v[44:45], -v[8:9]
	v_add_f64 v[44:45], v[14:15], v[42:43]
	s_mov_b32 s0, 0xe00740e9
	s_mov_b32 s4, 0xebaa3ed8
	;; [unrolled: 1-line block ×4, first 2 shown]
	v_add_f64 v[48:49], v[46:47], v[84:85]
	v_mul_f64 v[84:85], v[4:5], s[24:25]
	v_mul_f64 v[86:87], v[4:5], s[20:21]
	v_mul_f64 v[88:89], v[4:5], s[26:27]
	s_mov_b32 s8, 0xb2365da1
	s_mov_b32 s14, 0xd0032e0c
	;; [unrolled: 1-line block ×10, first 2 shown]
	v_add_f64 v[46:47], v[10:11], v[46:47]
	v_add_f64 v[12:13], v[40:41], -v[12:13]
	v_add_f64 v[24:25], v[36:37], -v[24:25]
	v_add_f64 v[36:37], v[34:35], v[30:31]
	v_mul_f64 v[90:91], v[8:9], s[22:23]
	v_mul_f64 v[92:93], v[8:9], s[20:21]
	;; [unrolled: 1-line block ×4, first 2 shown]
	v_add_f64 v[20:21], v[42:43], v[48:49]
	v_mul_f64 v[42:43], v[4:5], s[18:19]
	v_mul_f64 v[48:49], v[4:5], s[22:23]
	;; [unrolled: 1-line block ×3, first 2 shown]
	s_mov_b32 s19, 0x3fddbe06
	v_mul_f64 v[102:103], v[8:9], s[28:29]
	v_mul_f64 v[8:9], v[8:9], s[18:19]
	v_fma_f64 v[149:150], v[50:51], s[4:5], v[84:85]
	v_fma_f64 v[84:85], v[50:51], s[4:5], -v[84:85]
	v_fma_f64 v[151:152], v[50:51], s[8:9], v[86:87]
	v_fma_f64 v[86:87], v[50:51], s[8:9], -v[86:87]
	v_fma_f64 v[153:154], v[50:51], s[14:15], v[88:89]
	v_fma_f64 v[88:89], v[50:51], s[14:15], -v[88:89]
	s_mov_b32 s37, 0x3fedeba7
	s_mov_b32 s36, s20
	v_mul_f64 v[108:109], v[12:13], s[24:25]
	v_mul_f64 v[110:111], v[12:13], s[30:31]
	;; [unrolled: 1-line block ×6, first 2 shown]
	v_fma_f64 v[157:158], v[46:47], s[8:9], v[92:93]
	v_add_f64 v[20:21], v[38:39], v[20:21]
	v_fma_f64 v[147:148], v[50:51], s[0:1], v[42:43]
	v_fma_f64 v[92:93], v[46:47], s[8:9], -v[92:93]
	v_fma_f64 v[155:156], v[50:51], s[16:17], v[4:5]
	v_fma_f64 v[4:5], v[50:51], s[16:17], -v[4:5]
	;; [unrolled: 2-line block ×6, first 2 shown]
	v_add_f64 v[84:85], v[2:3], v[84:85]
	v_add_f64 v[86:87], v[2:3], v[86:87]
	v_add_f64 v[28:29], v[28:29], -v[32:33]
	v_add_f64 v[32:33], v[18:19], v[22:23]
	v_add_f64 v[88:89], v[2:3], v[88:89]
	s_mov_b32 s41, 0x3fcea1e5
	s_mov_b32 s39, 0x3fea55e2
	;; [unrolled: 1-line block ×4, first 2 shown]
	v_add_f64 v[20:21], v[30:31], v[20:21]
	v_fma_f64 v[30:31], v[50:51], s[0:1], -v[42:43]
	v_fma_f64 v[42:43], v[50:51], s[6:7], v[48:49]
	v_fma_f64 v[48:49], v[50:51], s[6:7], -v[48:49]
	v_fma_f64 v[50:51], v[46:47], s[6:7], v[90:91]
	v_fma_f64 v[90:91], v[46:47], s[6:7], -v[90:91]
	v_add_f64 v[46:47], v[2:3], v[147:148]
	v_add_f64 v[147:148], v[2:3], v[149:150]
	;; [unrolled: 1-line block ×7, first 2 shown]
	v_mul_f64 v[38:39], v[24:25], s[20:21]
	v_mul_f64 v[119:120], v[24:25], s[34:35]
	;; [unrolled: 1-line block ×6, first 2 shown]
	v_fma_f64 v[165:166], v[44:45], s[16:17], v[110:111]
	v_fma_f64 v[110:111], v[44:45], s[16:17], -v[110:111]
	v_fma_f64 v[167:168], v[44:45], s[8:9], v[113:114]
	v_add_f64 v[20:21], v[22:23], v[20:21]
	v_fma_f64 v[22:23], v[44:45], s[4:5], v[108:109]
	v_add_f64 v[42:43], v[2:3], v[42:43]
	v_add_f64 v[48:49], v[2:3], v[48:49]
	;; [unrolled: 1-line block ×3, first 2 shown]
	v_fma_f64 v[108:109], v[44:45], s[4:5], -v[108:109]
	v_fma_f64 v[113:114], v[44:45], s[8:9], -v[113:114]
	v_fma_f64 v[169:170], v[44:45], s[6:7], v[115:116]
	v_fma_f64 v[115:116], v[44:45], s[6:7], -v[115:116]
	v_fma_f64 v[175:176], v[44:45], s[0:1], v[12:13]
	v_fma_f64 v[12:13], v[44:45], s[0:1], -v[12:13]
	v_add_f64 v[86:87], v[100:101], v[86:87]
	v_add_f64 v[4:5], v[8:9], v[4:5]
	;; [unrolled: 1-line block ×3, first 2 shown]
	v_mul_f64 v[127:128], v[28:29], s[26:27]
	v_mul_f64 v[129:130], v[28:29], s[28:29]
	v_mul_f64 v[131:132], v[28:29], s[22:23]
	v_fma_f64 v[155:156], v[40:41], s[8:9], v[38:39]
	v_fma_f64 v[38:39], v[40:41], s[8:9], -v[38:39]
	v_fma_f64 v[30:31], v[40:41], s[14:15], v[119:120]
	v_fma_f64 v[119:120], v[40:41], s[14:15], -v[119:120]
	v_fma_f64 v[173:174], v[40:41], s[4:5], v[121:122]
	v_add_f64 v[18:19], v[18:19], v[20:21]
	v_fma_f64 v[20:21], v[44:45], s[14:15], v[117:118]
	v_fma_f64 v[117:118], v[44:45], s[14:15], -v[117:118]
	v_add_f64 v[44:45], v[50:51], v[46:47]
	v_add_f64 v[42:43], v[157:158], v[42:43]
	;; [unrolled: 1-line block ×9, first 2 shown]
	v_fma_f64 v[100:101], v[40:41], s[16:17], -v[123:124]
	v_fma_f64 v[102:103], v[40:41], s[6:7], v[125:126]
	v_fma_f64 v[90:91], v[40:41], s[6:7], -v[125:126]
	v_fma_f64 v[125:126], v[40:41], s[0:1], v[24:25]
	v_fma_f64 v[24:25], v[40:41], s[0:1], -v[24:25]
	v_mul_f64 v[133:134], v[28:29], s[40:41]
	v_mul_f64 v[135:136], v[28:29], s[20:21]
	;; [unrolled: 1-line block ×3, first 2 shown]
	v_add_f64 v[12:13], v[12:13], v[86:87]
	v_mul_f64 v[137:138], v[16:17], s[30:31]
	v_add_f64 v[8:9], v[34:35], v[18:19]
	v_fma_f64 v[18:19], v[40:41], s[4:5], -v[121:122]
	v_fma_f64 v[34:35], v[40:41], s[16:17], v[123:124]
	v_add_f64 v[22:23], v[22:23], v[44:45]
	v_add_f64 v[40:41], v[165:166], v[42:43]
	;; [unrolled: 1-line block ×11, first 2 shown]
	v_mul_f64 v[139:140], v[16:17], s[26:27]
	v_mul_f64 v[141:142], v[16:17], s[38:39]
	;; [unrolled: 1-line block ×5, first 2 shown]
	v_fma_f64 v[121:122], v[36:37], s[14:15], v[127:128]
	v_fma_f64 v[123:124], v[36:37], s[4:5], v[129:130]
	;; [unrolled: 1-line block ×3, first 2 shown]
	v_add_f64 v[8:9], v[26:27], v[8:9]
	v_fma_f64 v[26:27], v[36:37], s[4:5], -v[129:130]
	v_fma_f64 v[92:93], v[36:37], s[16:17], v[133:134]
	v_add_f64 v[22:23], v[155:156], v[22:23]
	v_add_f64 v[30:31], v[30:31], v[40:41]
	v_add_f64 v[40:41], v[119:120], v[42:43]
	v_add_f64 v[42:43], v[125:126], v[44:45]
	v_fma_f64 v[113:114], v[36:37], s[0:1], v[28:29]
	v_add_f64 v[44:45], v[173:174], v[48:49]
	v_add_f64 v[12:13], v[18:19], v[12:13]
	;; [unrolled: 1-line block ×3, first 2 shown]
	v_fma_f64 v[108:109], v[36:37], s[8:9], v[135:136]
	v_fma_f64 v[110:111], v[36:37], s[8:9], -v[135:136]
	v_add_f64 v[20:21], v[102:103], v[20:21]
	v_add_f64 v[4:5], v[90:91], v[4:5]
	v_fma_f64 v[94:95], v[36:37], s[16:17], -v[133:134]
	v_fma_f64 v[28:29], v[36:37], s[0:1], -v[28:29]
	v_add_f64 v[34:35], v[100:101], v[84:85]
	v_fma_f64 v[88:89], v[36:37], s[6:7], -v[131:132]
	v_add_f64 v[24:25], v[24:25], v[46:47]
	v_add_f64 v[2:3], v[38:39], v[2:3]
	v_fma_f64 v[46:47], v[32:33], s[14:15], v[139:140]
	v_add_f64 v[8:9], v[14:15], v[8:9]
	v_fma_f64 v[14:15], v[36:37], s[14:15], -v[127:128]
	v_fma_f64 v[36:37], v[32:33], s[16:17], v[137:138]
	v_fma_f64 v[90:91], v[32:33], s[0:1], v[16:17]
	v_fma_f64 v[16:17], v[32:33], s[0:1], -v[16:17]
	v_add_f64 v[22:23], v[121:122], v[22:23]
	v_add_f64 v[30:31], v[123:124], v[30:31]
	;; [unrolled: 1-line block ×4, first 2 shown]
	v_fma_f64 v[48:49], v[32:33], s[6:7], v[141:142]
	v_fma_f64 v[50:51], v[32:33], s[8:9], v[143:144]
	v_add_f64 v[42:43], v[92:93], v[44:45]
	v_add_f64 v[18:19], v[113:114], v[18:19]
	v_fma_f64 v[84:85], v[32:33], s[4:5], v[145:146]
	v_add_f64 v[20:21], v[108:109], v[20:21]
	v_add_f64 v[4:5], v[110:111], v[4:5]
	v_fma_f64 v[38:39], v[32:33], s[6:7], -v[141:142]
	v_add_f64 v[12:13], v[94:95], v[12:13]
	v_add_f64 v[28:29], v[28:29], v[34:35]
	v_fma_f64 v[34:35], v[32:33], s[8:9], -v[143:144]
	v_add_f64 v[24:25], v[88:89], v[24:25]
	v_fma_f64 v[44:45], v[32:33], s[14:15], -v[139:140]
	;; [unrolled: 2-line block ×3, first 2 shown]
	v_fma_f64 v[32:33], v[32:33], s[16:17], -v[137:138]
	v_add_f64 v[2:3], v[14:15], v[2:3]
	v_add_f64 v[14:15], v[36:37], v[22:23]
	;; [unrolled: 1-line block ×14, first 2 shown]
	v_mad_u32_u24 v8, 0x68, v77, 0
	ds_write2_b64 v8, v[22:23], v[26:27] offset0:2 offset1:3
	ds_write2_b64 v8, v[30:31], v[18:19] offset0:4 offset1:5
	;; [unrolled: 1-line block ×5, first 2 shown]
	ds_write2_b64 v8, v[6:7], v[14:15] offset1:1
	ds_write_b64 v8, v[2:3] offset:96
.LBB0_19:
	s_or_b32 exec_lo, exec_lo, s33
	v_and_b32_e32 v49, 0xff, v112
	v_and_b32_e32 v50, 0xff, v77
	v_add_nc_u32_e32 v28, 0xea, v112
	v_mov_b32_e32 v5, 0x4ec5
	v_add_nc_u32_e32 v3, 0x15f, v112
	v_mul_lo_u16 v4, 0x4f, v49
	v_mul_lo_u16 v6, 0x4f, v50
	v_add_nc_u32_e32 v2, 0x1d4, v112
	v_mul_u32_u24_sdwa v7, v28, v5 dst_sel:DWORD dst_unused:UNUSED_PAD src0_sel:WORD_0 src1_sel:DWORD
	v_mul_u32_u24_sdwa v8, v3, v5 dst_sel:DWORD dst_unused:UNUSED_PAD src0_sel:WORD_0 src1_sel:DWORD
	v_lshrrev_b16 v51, 10, v4
	v_lshrrev_b16 v121, 10, v6
	v_mul_u32_u24_sdwa v5, v2, v5 dst_sel:DWORD dst_unused:UNUSED_PAD src0_sel:WORD_0 src1_sel:DWORD
	v_lshrrev_b32_e32 v122, 18, v7
	v_mov_b32_e32 v4, 5
	v_mul_lo_u16 v6, v51, 13
	v_mul_lo_u16 v7, v121, 13
	v_lshrrev_b32_e32 v124, 18, v8
	v_lshrrev_b32_e32 v125, 18, v5
	v_mul_lo_u16 v5, v122, 13
	v_sub_nc_u16 v123, v112, v6
	v_sub_nc_u16 v126, v77, v7
	v_mul_lo_u16 v11, v124, 13
	v_mul_lo_u16 v14, v125, 13
	v_sub_nc_u16 v127, v28, v5
	v_lshlrev_b32_sdwa v10, v4, v123 dst_sel:DWORD dst_unused:UNUSED_PAD src0_sel:DWORD src1_sel:BYTE_0
	v_lshlrev_b32_sdwa v5, v4, v126 dst_sel:DWORD dst_unused:UNUSED_PAD src0_sel:DWORD src1_sel:BYTE_0
	s_waitcnt lgkmcnt(0)
	s_barrier
	buffer_gl0_inv
	global_load_dwordx4 v[6:9], v10, s[12:13]
	v_sub_nc_u16 v128, v3, v11
	global_load_dwordx4 v[10:13], v10, s[12:13] offset:16
	v_sub_nc_u16 v129, v2, v14
	s_clause 0x1
	global_load_dwordx4 v[14:17], v5, s[12:13]
	global_load_dwordx4 v[18:21], v5, s[12:13] offset:16
	v_lshlrev_b32_sdwa v26, v4, v127 dst_sel:DWORD dst_unused:UNUSED_PAD src0_sel:DWORD src1_sel:WORD_0
	v_lshlrev_b32_sdwa v27, v4, v128 dst_sel:DWORD dst_unused:UNUSED_PAD src0_sel:DWORD src1_sel:WORD_0
	;; [unrolled: 1-line block ×3, first 2 shown]
	s_clause 0x5
	global_load_dwordx4 v[22:25], v26, s[12:13]
	global_load_dwordx4 v[29:32], v26, s[12:13] offset:16
	global_load_dwordx4 v[33:36], v27, s[12:13]
	global_load_dwordx4 v[37:40], v27, s[12:13] offset:16
	;; [unrolled: 2-line block ×3, first 2 shown]
	v_mul_lo_u16 v49, 0xa5, v49
	v_mul_lo_u16 v50, 0xa5, v50
	v_mov_b32_e32 v130, 0x138
	v_mov_b32_e32 v131, 0xa41b
	ds_read2_b64 v[84:87], v80 offset1:117
	ds_read2_b64 v[88:91], v76 offset0:84 offset1:201
	ds_read2_b64 v[92:95], v79 offset0:18 offset1:135
	;; [unrolled: 1-line block ×6, first 2 shown]
	ds_read_b64 v[26:27], v80 offset:13104
	v_lshrrev_b16 v49, 8, v49
	v_lshrrev_b16 v50, 8, v50
	v_mul_u32_u24_sdwa v51, v51, v130 dst_sel:DWORD dst_unused:UNUSED_PAD src0_sel:WORD_0 src1_sel:DWORD
	v_mul_u32_u24_sdwa v121, v121, v130 dst_sel:DWORD dst_unused:UNUSED_PAD src0_sel:WORD_0 src1_sel:DWORD
	;; [unrolled: 1-line block ×3, first 2 shown]
	v_sub_nc_u16 v130, v112, v49
	v_sub_nc_u16 v134, v77, v50
	v_mul_u32_u24_sdwa v133, v3, v131 dst_sel:DWORD dst_unused:UNUSED_PAD src0_sel:WORD_0 src1_sel:DWORD
	v_mul_u32_u24_sdwa v131, v2, v131 dst_sel:DWORD dst_unused:UNUSED_PAD src0_sel:WORD_0 src1_sel:DWORD
	v_lshrrev_b32_e32 v132, 16, v132
	v_lshrrev_b16 v130, 1, v130
	v_lshrrev_b16 v134, 1, v134
	v_lshrrev_b32_e32 v133, 16, v133
	v_lshrrev_b32_e32 v131, 16, v131
	v_mov_b32_e32 v5, 3
	v_and_b32_e32 v130, 0x7f, v130
	v_and_b32_e32 v134, 0x7f, v134
	v_sub_nc_u16 v135, v28, v132
	v_sub_nc_u16 v136, v3, v133
	;; [unrolled: 1-line block ×3, first 2 shown]
	v_add_nc_u16 v49, v130, v49
	v_add_nc_u16 v50, v134, v50
	v_mul_u32_u24_e32 v122, 0x138, v122
	v_lshlrev_b32_sdwa v126, v5, v126 dst_sel:DWORD dst_unused:UNUSED_PAD src0_sel:DWORD src1_sel:BYTE_0
	v_lshlrev_b32_sdwa v127, v5, v127 dst_sel:DWORD dst_unused:UNUSED_PAD src0_sel:DWORD src1_sel:WORD_0
	v_lshrrev_b16 v49, 5, v49
	v_lshrrev_b16 v50, 5, v50
	;; [unrolled: 1-line block ×5, first 2 shown]
	v_mul_u32_u24_e32 v124, 0x138, v124
	v_mul_u32_u24_e32 v125, 0x138, v125
	v_lshlrev_b32_sdwa v123, v5, v123 dst_sel:DWORD dst_unused:UNUSED_PAD src0_sel:DWORD src1_sel:BYTE_0
	v_lshlrev_b32_sdwa v128, v5, v128 dst_sel:DWORD dst_unused:UNUSED_PAD src0_sel:DWORD src1_sel:WORD_0
	v_lshlrev_b32_sdwa v129, v5, v129 dst_sel:DWORD dst_unused:UNUSED_PAD src0_sel:DWORD src1_sel:WORD_0
	v_add3_u32 v140, 0, v121, v126
	v_add3_u32 v141, 0, v122, v127
	v_and_b32_e32 v147, 7, v49
	v_and_b32_e32 v148, 7, v50
	v_add_nc_u16 v132, v135, v132
	v_add_nc_u16 v133, v136, v133
	;; [unrolled: 1-line block ×3, first 2 shown]
	v_add3_u32 v139, 0, v51, v123
	v_add3_u32 v142, 0, v124, v128
	;; [unrolled: 1-line block ×3, first 2 shown]
	v_lshrrev_b16 v144, 5, v132
	v_lshrrev_b16 v145, 5, v133
	;; [unrolled: 1-line block ×3, first 2 shown]
	s_mov_b32 s4, 0xe8584caa
	s_mov_b32 s5, 0x3febb67a
	v_mul_lo_u16 v51, v144, 39
	s_mov_b32 s7, 0xbfebb67a
	s_mov_b32 s6, s4
	v_mul_lo_u16 v152, v148, 39
	v_mul_lo_u16 v149, v145, 39
	v_sub_nc_u16 v151, v28, v51
	v_mul_lo_u16 v51, v147, 39
	v_mul_lo_u16 v150, v146, 39
	v_sub_nc_u16 v152, v77, v152
	s_waitcnt vmcnt(0) lgkmcnt(0)
	s_barrier
	v_sub_nc_u16 v153, v112, v51
	buffer_gl0_inv
	v_mul_f64 v[49:50], v[90:91], v[8:9]
	v_mul_f64 v[8:9], v[58:59], v[8:9]
	;; [unrolled: 1-line block ×20, first 2 shown]
	v_fma_f64 v[49:50], v[58:59], v[6:7], -v[49:50]
	v_fma_f64 v[6:7], v[90:91], v[6:7], v[8:9]
	v_fma_f64 v[8:9], v[64:65], v[10:11], -v[121:122]
	v_fma_f64 v[10:11], v[92:93], v[10:11], v[12:13]
	;; [unrolled: 2-line block ×4, first 2 shown]
	v_fma_f64 v[20:21], v[62:63], v[22:23], -v[127:128]
	v_fma_f64 v[58:59], v[72:73], v[29:30], -v[129:130]
	v_fma_f64 v[22:23], v[102:103], v[22:23], v[24:25]
	v_fma_f64 v[24:25], v[113:114], v[29:30], v[31:32]
	v_fma_f64 v[60:61], v[68:69], v[33:34], -v[131:132]
	v_fma_f64 v[62:63], v[74:75], v[37:38], -v[133:134]
	v_fma_f64 v[29:30], v[117:118], v[33:34], v[35:36]
	v_fma_f64 v[31:32], v[115:116], v[37:38], v[39:40]
	;; [unrolled: 4-line block ×3, first 2 shown]
	v_sub_nc_u16 v121, v3, v149
	v_lshlrev_b32_sdwa v122, v4, v153 dst_sel:DWORD dst_unused:UNUSED_PAD src0_sel:DWORD src1_sel:BYTE_0
	v_add_f64 v[35:36], v[96:97], v[49:50]
	v_add_f64 v[41:42], v[84:85], v[6:7]
	;; [unrolled: 1-line block ×3, first 2 shown]
	v_add_f64 v[39:40], v[6:7], -v[10:11]
	v_add_f64 v[6:7], v[6:7], v[10:11]
	v_add_f64 v[70:71], v[86:87], v[14:15]
	;; [unrolled: 1-line block ×3, first 2 shown]
	v_add_f64 v[66:67], v[14:15], -v[18:19]
	v_add_f64 v[14:15], v[14:15], v[18:19]
	v_add_f64 v[43:44], v[49:50], -v[8:9]
	v_add_f64 v[47:48], v[98:99], v[12:13]
	v_add_f64 v[49:50], v[20:21], v[58:59]
	v_add_f64 v[90:91], v[22:23], -v[24:25]
	v_add_f64 v[92:93], v[108:109], v[22:23]
	v_add_f64 v[22:23], v[22:23], v[24:25]
	;; [unrolled: 1-line block ×8, first 2 shown]
	v_add_f64 v[12:13], v[12:13], -v[16:17]
	v_add_f64 v[20:21], v[20:21], -v[58:59]
	v_add_f64 v[41:42], v[41:42], v[10:11]
	v_fma_f64 v[37:38], v[37:38], -0.5, v[96:97]
	v_add_f64 v[100:101], v[29:30], -v[31:32]
	v_fma_f64 v[6:7], v[6:7], -0.5, v[84:85]
	v_add_f64 v[29:30], v[110:111], v[29:30]
	v_fma_f64 v[45:46], v[45:46], -0.5, v[98:99]
	v_add_f64 v[60:61], v[60:61], -v[62:63]
	v_fma_f64 v[14:15], v[14:15], -0.5, v[86:87]
	v_add_f64 v[115:116], v[56:57], v[64:65]
	v_add_f64 v[10:11], v[47:48], v[16:17]
	v_fma_f64 v[49:50], v[49:50], -0.5, v[52:53]
	v_add_f64 v[47:48], v[70:71], v[18:19]
	v_add_f64 v[96:97], v[33:34], -v[26:27]
	v_fma_f64 v[18:19], v[22:23], -0.5, v[108:109]
	v_fma_f64 v[51:52], v[68:69], -0.5, v[54:55]
	;; [unrolled: 1-line block ×3, first 2 shown]
	v_add_f64 v[33:34], v[88:89], v[33:34]
	v_add_f64 v[53:54], v[64:65], -v[0:1]
	v_fma_f64 v[55:56], v[72:73], -0.5, v[56:57]
	v_add_f64 v[8:9], v[35:36], v[8:9]
	v_fma_f64 v[35:36], v[113:114], -0.5, v[88:89]
	v_add_f64 v[16:17], v[74:75], v[58:59]
	v_add_f64 v[57:58], v[92:93], v[24:25]
	;; [unrolled: 1-line block ×3, first 2 shown]
	v_fma_f64 v[62:63], v[39:40], s[4:5], v[37:38]
	v_fma_f64 v[72:73], v[43:44], s[6:7], v[6:7]
	;; [unrolled: 1-line block ×10, first 2 shown]
	v_add_f64 v[70:71], v[29:30], v[31:32]
	v_fma_f64 v[86:87], v[20:21], s[6:7], v[18:19]
	v_fma_f64 v[88:89], v[20:21], s[4:5], v[18:19]
	;; [unrolled: 1-line block ×6, first 2 shown]
	v_add_f64 v[0:1], v[115:116], v[0:1]
	v_fma_f64 v[68:69], v[96:97], s[4:5], v[55:56]
	v_add_f64 v[26:27], v[33:34], v[26:27]
	v_fma_f64 v[92:93], v[53:54], s[6:7], v[35:36]
	v_fma_f64 v[55:56], v[96:97], s[6:7], v[55:56]
	v_fma_f64 v[53:54], v[53:54], s[4:5], v[35:36]
	ds_write2_b64 v139, v[8:9], v[62:63] offset1:13
	ds_write_b64 v139, v[37:38] offset:208
	ds_write2_b64 v140, v[10:11], v[39:40] offset1:13
	ds_write_b64 v140, v[45:46] offset:208
	;; [unrolled: 2-line block ×5, first 2 shown]
	s_waitcnt lgkmcnt(0)
	s_barrier
	buffer_gl0_inv
	ds_read2_b64 v[6:9], v80 offset1:117
	ds_read2_b64 v[10:13], v76 offset0:84 offset1:201
	ds_read2_b64 v[14:17], v79 offset0:18 offset1:135
	ds_read2_b64 v[18:21], v81 offset0:62 offset1:179
	ds_read2_b64 v[22:25], v78 offset0:106 offset1:223
	ds_read2_b64 v[29:32], v82 offset0:124 offset1:241
	ds_read2_b64 v[33:36], v83 offset0:40 offset1:157
	ds_read_b64 v[117:118], v80 offset:13104
	s_waitcnt lgkmcnt(0)
	s_barrier
	buffer_gl0_inv
	ds_write2_b64 v139, v[41:42], v[72:73] offset1:13
	ds_write_b64 v139, v[43:44] offset:208
	ds_write2_b64 v140, v[47:48], v[74:75] offset1:13
	ds_write_b64 v140, v[84:85] offset:208
	;; [unrolled: 2-line block ×5, first 2 shown]
	v_sub_nc_u16 v26, v2, v150
	v_lshlrev_b32_sdwa v123, v4, v152 dst_sel:DWORD dst_unused:UNUSED_PAD src0_sel:DWORD src1_sel:BYTE_0
	v_lshlrev_b32_sdwa v0, v4, v151 dst_sel:DWORD dst_unused:UNUSED_PAD src0_sel:DWORD src1_sel:WORD_0
	v_lshlrev_b32_sdwa v1, v4, v121 dst_sel:DWORD dst_unused:UNUSED_PAD src0_sel:DWORD src1_sel:WORD_0
	s_waitcnt lgkmcnt(0)
	s_barrier
	buffer_gl0_inv
	s_clause 0x1
	global_load_dwordx4 v[42:45], v122, s[12:13] offset:416
	global_load_dwordx4 v[46:49], v122, s[12:13] offset:432
	v_lshlrev_b32_sdwa v4, v4, v26 dst_sel:DWORD dst_unused:UNUSED_PAD src0_sel:DWORD src1_sel:WORD_0
	s_clause 0x7
	global_load_dwordx4 v[50:53], v123, s[12:13] offset:416
	global_load_dwordx4 v[54:57], v123, s[12:13] offset:432
	global_load_dwordx4 v[58:61], v0, s[12:13] offset:416
	global_load_dwordx4 v[62:65], v0, s[12:13] offset:432
	global_load_dwordx4 v[66:69], v1, s[12:13] offset:416
	global_load_dwordx4 v[70:73], v1, s[12:13] offset:432
	global_load_dwordx4 v[84:87], v4, s[12:13] offset:416
	global_load_dwordx4 v[88:91], v4, s[12:13] offset:432
	v_mov_b32_e32 v0, 0x8c09
	v_lshlrev_b32_e32 v40, 1, v112
	v_mov_b32_e32 v41, 0
	v_mov_b32_e32 v96, 0x3a8
	ds_read2_b64 v[92:95], v81 offset0:62 offset1:179
	v_mul_u32_u24_sdwa v1, v28, v0 dst_sel:DWORD dst_unused:UNUSED_PAD src0_sel:WORD_0 src1_sel:DWORD
	v_mul_u32_u24_sdwa v4, v3, v0 dst_sel:DWORD dst_unused:UNUSED_PAD src0_sel:WORD_0 src1_sel:DWORD
	;; [unrolled: 1-line block ×5, first 2 shown]
	v_lshrrev_b32_e32 v1, 22, v1
	v_lshrrev_b32_e32 v4, 22, v4
	v_lshrrev_b32_e32 v27, 22, v0
	v_mul_u32_u24_sdwa v110, v147, v96 dst_sel:DWORD dst_unused:UNUSED_PAD src0_sel:WORD_0 src1_sel:DWORD
	v_mul_u32_u24_sdwa v111, v148, v96 dst_sel:DWORD dst_unused:UNUSED_PAD src0_sel:WORD_0 src1_sel:DWORD
	v_mul_lo_u16 v37, 0x75, v1
	v_mul_lo_u16 v4, 0x75, v4
	v_lshlrev_b64 v[0:1], 4, v[40:41]
	v_mul_lo_u16 v27, 0x75, v27
	v_lshlrev_b32_sdwa v115, v5, v26 dst_sel:DWORD dst_unused:UNUSED_PAD src0_sel:DWORD src1_sel:WORD_0
	v_sub_nc_u16 v37, v28, v37
	v_sub_nc_u16 v3, v3, v4
	v_mul_u32_u24_sdwa v4, v144, v96 dst_sel:DWORD dst_unused:UNUSED_PAD src0_sel:WORD_0 src1_sel:DWORD
	v_add_co_u32 v74, s0, s12, v0
	v_add_co_ci_u32_e64 v75, s0, s13, v1, s0
	v_sub_nc_u16 v137, v2, v27
	v_and_b32_e32 v138, 0xffff, v37
	v_and_b32_e32 v139, 0xffff, v3
	ds_read2_b64 v[0:3], v76 offset0:84 offset1:201
	ds_read2_b64 v[37:40], v79 offset0:18 offset1:135
	;; [unrolled: 1-line block ×4, first 2 shown]
	ds_read_b64 v[26:27], v80 offset:13104
	v_lshlrev_b32_sdwa v113, v5, v151 dst_sel:DWORD dst_unused:UNUSED_PAD src0_sel:DWORD src1_sel:WORD_0
	v_lshlrev_b32_sdwa v114, v5, v121 dst_sel:DWORD dst_unused:UNUSED_PAD src0_sel:DWORD src1_sel:WORD_0
	v_lshlrev_b32_sdwa v116, v5, v153 dst_sel:DWORD dst_unused:UNUSED_PAD src0_sel:DWORD src1_sel:BYTE_0
	v_lshlrev_b32_sdwa v5, v5, v152 dst_sel:DWORD dst_unused:UNUSED_PAD src0_sel:DWORD src1_sel:BYTE_0
	v_add3_u32 v142, 0, v109, v115
	v_add3_u32 v140, 0, v4, v113
	v_add3_u32 v141, 0, v108, v114
	v_add3_u32 v143, 0, v110, v116
	v_add3_u32 v144, 0, v111, v5
	ds_read2_b64 v[108:111], v80 offset1:117
	ds_read2_b64 v[113:116], v78 offset0:106 offset1:223
	s_waitcnt vmcnt(0) lgkmcnt(0)
	s_barrier
	buffer_gl0_inv
	v_mul_f64 v[4:5], v[2:3], v[44:45]
	v_mul_f64 v[44:45], v[12:13], v[44:45]
	;; [unrolled: 1-line block ×20, first 2 shown]
	v_fma_f64 v[4:5], v[12:13], v[42:43], -v[4:5]
	v_fma_f64 v[2:3], v[2:3], v[42:43], v[44:45]
	v_fma_f64 v[12:13], v[14:15], v[46:47], -v[119:120]
	v_fma_f64 v[14:15], v[37:38], v[46:47], v[48:49]
	v_fma_f64 v[35:36], v[35:36], v[84:85], -v[133:134]
	v_fma_f64 v[42:43], v[117:118], v[88:89], -v[135:136]
	v_fma_f64 v[18:19], v[18:19], v[50:51], -v[121:122]
	v_fma_f64 v[37:38], v[92:93], v[50:51], v[52:53]
	v_fma_f64 v[16:17], v[16:17], v[54:55], -v[123:124]
	v_fma_f64 v[39:40], v[39:40], v[54:55], v[56:57]
	v_fma_f64 v[20:21], v[20:21], v[58:59], -v[125:126]
	v_fma_f64 v[29:30], v[29:30], v[62:63], -v[127:128]
	v_fma_f64 v[44:45], v[94:95], v[58:59], v[60:61]
	v_fma_f64 v[46:47], v[96:97], v[62:63], v[64:65]
	v_fma_f64 v[33:34], v[33:34], v[66:67], -v[129:130]
	v_fma_f64 v[31:32], v[31:32], v[70:71], -v[131:132]
	v_fma_f64 v[48:49], v[100:101], v[66:67], v[68:69]
	v_fma_f64 v[50:51], v[98:99], v[70:71], v[72:73]
	;; [unrolled: 1-line block ×4, first 2 shown]
	v_lshl_add_u32 v127, v138, 3, 0
	v_lshl_add_u32 v128, v139, 3, 0
	v_add_f64 v[54:55], v[6:7], v[4:5]
	v_add_f64 v[60:61], v[108:109], v[2:3]
	;; [unrolled: 1-line block ×3, first 2 shown]
	v_add_f64 v[58:59], v[2:3], -v[14:15]
	v_add_f64 v[2:3], v[2:3], v[14:15]
	v_add_f64 v[84:85], v[35:36], v[42:43]
	;; [unrolled: 1-line block ×5, first 2 shown]
	v_add_f64 v[68:69], v[37:38], -v[39:40]
	v_add_f64 v[37:38], v[37:38], v[39:40]
	v_add_f64 v[66:67], v[20:21], v[29:30]
	;; [unrolled: 1-line block ×3, first 2 shown]
	v_add_f64 v[88:89], v[44:45], -v[46:47]
	v_add_f64 v[44:45], v[44:45], v[46:47]
	v_add_f64 v[70:71], v[33:34], v[31:32]
	v_add_f64 v[4:5], v[4:5], -v[12:13]
	v_add_f64 v[96:97], v[48:49], v[50:51]
	v_add_f64 v[94:95], v[48:49], -v[50:51]
	v_add_f64 v[98:99], v[52:53], v[26:27]
	v_add_f64 v[48:49], v[115:116], v[48:49]
	;; [unrolled: 1-line block ×3, first 2 shown]
	v_add_f64 v[18:19], v[18:19], -v[16:17]
	v_add_f64 v[12:13], v[54:55], v[12:13]
	v_fma_f64 v[6:7], v[56:57], -0.5, v[6:7]
	v_add_f64 v[56:57], v[52:53], -v[26:27]
	v_add_f64 v[52:53], v[0:1], v[52:53]
	v_fma_f64 v[2:3], v[2:3], -0.5, v[108:109]
	v_fma_f64 v[10:11], v[84:85], -0.5, v[10:11]
	v_add_f64 v[54:55], v[60:61], v[14:15]
	v_fma_f64 v[8:9], v[62:63], -0.5, v[8:9]
	v_add_f64 v[14:15], v[64:65], v[16:17]
	;; [unrolled: 2-line block ×3, first 2 shown]
	v_add_f64 v[20:21], v[20:21], -v[29:30]
	v_fma_f64 v[22:23], v[66:67], -0.5, v[22:23]
	v_fma_f64 v[37:38], v[44:45], -0.5, v[113:114]
	v_add_f64 v[92:93], v[24:25], v[33:34]
	v_add_f64 v[33:34], v[33:34], -v[31:32]
	v_fma_f64 v[24:25], v[70:71], -0.5, v[24:25]
	v_add_f64 v[44:45], v[90:91], v[46:47]
	v_fma_f64 v[46:47], v[96:97], -0.5, v[115:116]
	v_add_f64 v[35:36], v[35:36], -v[42:43]
	v_fma_f64 v[0:1], v[98:99], -0.5, v[0:1]
	v_add_f64 v[48:49], v[48:49], v[50:51]
	v_add_f64 v[39:40], v[72:73], v[39:40]
	v_fma_f64 v[60:61], v[58:59], s[4:5], v[6:7]
	v_fma_f64 v[6:7], v[58:59], s[6:7], v[6:7]
	v_add_f64 v[50:51], v[52:53], v[26:27]
	v_fma_f64 v[52:53], v[4:5], s[6:7], v[2:3]
	v_fma_f64 v[66:67], v[56:57], s[4:5], v[10:11]
	;; [unrolled: 1-line block ×8, first 2 shown]
	v_add_f64 v[29:30], v[86:87], v[29:30]
	v_fma_f64 v[62:63], v[88:89], s[4:5], v[22:23]
	v_fma_f64 v[72:73], v[20:21], s[6:7], v[37:38]
	;; [unrolled: 1-line block ×4, first 2 shown]
	v_add_f64 v[31:32], v[92:93], v[31:32]
	v_fma_f64 v[64:65], v[94:95], s[4:5], v[24:25]
	v_fma_f64 v[84:85], v[33:34], s[6:7], v[46:47]
	;; [unrolled: 1-line block ×4, first 2 shown]
	v_add_f64 v[42:43], v[100:101], v[42:43]
	v_fma_f64 v[46:47], v[35:36], s[6:7], v[0:1]
	v_fma_f64 v[35:36], v[35:36], s[4:5], v[0:1]
	ds_write2_b64 v143, v[12:13], v[60:61] offset1:39
	ds_write_b64 v143, v[6:7] offset:624
	ds_write2_b64 v144, v[14:15], v[58:59] offset1:39
	ds_write_b64 v144, v[8:9] offset:624
	ds_write2_b64 v140, v[29:30], v[62:63] offset1:39
	ds_write_b64 v140, v[22:23] offset:624
	ds_write2_b64 v141, v[31:32], v[64:65] offset1:39
	ds_write_b64 v141, v[24:25] offset:624
	ds_write2_b64 v142, v[42:43], v[66:67] offset1:39
	ds_write_b64 v142, v[10:11] offset:624
	s_waitcnt lgkmcnt(0)
	s_barrier
	buffer_gl0_inv
	ds_read2_b64 v[0:3], v80 offset1:117
	ds_read2_b64 v[4:7], v76 offset0:84 offset1:201
	ds_read2_b64 v[8:11], v79 offset0:18 offset1:135
	;; [unrolled: 1-line block ×6, first 2 shown]
	ds_read_b64 v[96:97], v80 offset:13104
	s_waitcnt lgkmcnt(0)
	s_barrier
	buffer_gl0_inv
	ds_write2_b64 v143, v[54:55], v[52:53] offset1:39
	ds_write_b64 v143, v[56:57] offset:624
	ds_write2_b64 v144, v[39:40], v[68:69] offset1:39
	ds_write_b64 v144, v[70:71] offset:624
	;; [unrolled: 2-line block ×5, first 2 shown]
	s_waitcnt lgkmcnt(0)
	s_barrier
	buffer_gl0_inv
	s_clause 0x1
	global_load_dwordx4 v[29:32], v[74:75], off offset:1664
	global_load_dwordx4 v[33:36], v[74:75], off offset:1680
	v_and_b32_e32 v92, 0xffff, v137
	v_lshlrev_b32_e32 v42, 5, v138
	v_lshlrev_b32_e32 v50, 5, v139
	v_add_nc_u32_e32 v130, 0x1400, v127
	v_add_nc_u32_e32 v131, 0x2000, v128
	v_lshlrev_b32_e32 v58, 5, v92
	s_clause 0x5
	global_load_dwordx4 v[37:40], v42, s[12:13] offset:1664
	global_load_dwordx4 v[42:45], v42, s[12:13] offset:1680
	;; [unrolled: 1-line block ×6, first 2 shown]
	ds_read2_b64 v[62:65], v76 offset0:84 offset1:201
	ds_read2_b64 v[66:69], v79 offset0:18 offset1:135
	ds_read2_b64 v[70:73], v81 offset0:62 offset1:179
	ds_read2_b64 v[84:87], v82 offset0:124 offset1:241
	ds_read2_b64 v[88:91], v83 offset0:40 offset1:157
	ds_read_b64 v[74:75], v80 offset:13104
	v_lshl_add_u32 v129, v92, 3, 0
	ds_read2_b64 v[92:95], v80 offset1:117
	v_add_nc_u32_e32 v132, 0x2800, v129
	s_waitcnt vmcnt(7) lgkmcnt(6)
	v_mul_f64 v[98:99], v[64:65], v[31:32]
	v_mul_f64 v[100:101], v[6:7], v[31:32]
	s_waitcnt vmcnt(6) lgkmcnt(5)
	v_mul_f64 v[102:103], v[66:67], v[35:36]
	s_waitcnt lgkmcnt(4)
	v_mul_f64 v[110:111], v[70:71], v[31:32]
	v_mul_f64 v[113:114], v[68:69], v[35:36]
	;; [unrolled: 1-line block ×3, first 2 shown]
	s_waitcnt vmcnt(5)
	v_mul_f64 v[115:116], v[72:73], v[39:40]
	s_waitcnt vmcnt(4) lgkmcnt(3)
	v_mul_f64 v[117:118], v[84:85], v[44:45]
	s_waitcnt vmcnt(3) lgkmcnt(2)
	v_mul_f64 v[119:120], v[88:89], v[48:49]
	s_waitcnt vmcnt(2)
	v_mul_f64 v[121:122], v[86:87], v[52:53]
	v_mul_f64 v[31:32], v[12:13], v[31:32]
	;; [unrolled: 1-line block ×3, first 2 shown]
	s_waitcnt vmcnt(1)
	v_mul_f64 v[123:124], v[90:91], v[56:57]
	s_waitcnt vmcnt(0) lgkmcnt(1)
	v_mul_f64 v[125:126], v[74:75], v[60:61]
	v_mul_f64 v[39:40], v[14:15], v[39:40]
	;; [unrolled: 1-line block ×7, first 2 shown]
	v_fma_f64 v[98:99], v[6:7], v[29:30], -v[98:99]
	v_fma_f64 v[64:65], v[64:65], v[29:30], v[100:101]
	v_fma_f64 v[100:101], v[8:9], v[33:34], -v[102:103]
	v_fma_f64 v[12:13], v[12:13], v[29:30], -v[110:111]
	;; [unrolled: 1-line block ×3, first 2 shown]
	v_fma_f64 v[66:67], v[66:67], v[33:34], v[108:109]
	v_fma_f64 v[14:15], v[14:15], v[37:38], -v[115:116]
	v_fma_f64 v[20:21], v[20:21], v[42:43], -v[117:118]
	;; [unrolled: 1-line block ×4, first 2 shown]
	v_fma_f64 v[29:30], v[70:71], v[29:30], v[31:32]
	v_fma_f64 v[31:32], v[68:69], v[33:34], v[35:36]
	v_fma_f64 v[26:27], v[26:27], v[54:55], -v[123:124]
	v_fma_f64 v[33:34], v[96:97], v[58:59], -v[125:126]
	v_fma_f64 v[35:36], v[72:73], v[37:38], v[39:40]
	v_fma_f64 v[37:38], v[84:85], v[42:43], v[44:45]
	;; [unrolled: 1-line block ×6, first 2 shown]
	ds_read2_b64 v[6:9], v78 offset0:106 offset1:223
	s_waitcnt lgkmcnt(0)
	v_add_f64 v[48:49], v[0:1], v[98:99]
	v_add_f64 v[54:55], v[92:93], v[64:65]
	;; [unrolled: 1-line block ×5, first 2 shown]
	v_add_f64 v[52:53], v[64:65], -v[66:67]
	v_add_f64 v[56:57], v[64:65], v[66:67]
	v_add_f64 v[64:65], v[14:15], v[20:21]
	;; [unrolled: 1-line block ×5, first 2 shown]
	v_add_f64 v[72:73], v[29:30], -v[31:32]
	v_add_f64 v[29:30], v[29:30], v[31:32]
	v_add_f64 v[74:75], v[26:27], v[33:34]
	v_add_f64 v[60:61], v[98:99], -v[100:101]
	v_add_f64 v[88:89], v[35:36], -v[37:38]
	v_add_f64 v[96:97], v[18:19], v[24:25]
	v_add_f64 v[102:103], v[39:40], v[42:43]
	;; [unrolled: 1-line block ×5, first 2 shown]
	v_add_f64 v[98:99], v[39:40], -v[42:43]
	v_add_f64 v[108:109], v[4:5], v[26:27]
	v_add_f64 v[12:13], v[12:13], -v[10:11]
	v_fma_f64 v[0:1], v[50:51], -0.5, v[0:1]
	v_add_f64 v[50:51], v[44:45], -v[46:47]
	v_fma_f64 v[2:3], v[58:59], -0.5, v[2:3]
	v_add_f64 v[14:15], v[14:15], -v[20:21]
	v_add_f64 v[39:40], v[8:9], v[39:40]
	v_fma_f64 v[16:17], v[64:65], -0.5, v[16:17]
	v_add_f64 v[24:25], v[24:25], -v[22:23]
	v_fma_f64 v[18:19], v[70:71], -0.5, v[18:19]
	v_add_f64 v[44:45], v[62:63], v[44:45]
	v_add_f64 v[26:27], v[26:27], -v[33:34]
	v_add_f64 v[48:49], v[48:49], v[100:101]
	v_fma_f64 v[4:5], v[74:75], -0.5, v[4:5]
	v_fma_f64 v[56:57], v[56:57], -0.5, v[92:93]
	;; [unrolled: 1-line block ×3, first 2 shown]
	v_add_f64 v[10:11], v[68:69], v[10:11]
	v_fma_f64 v[8:9], v[102:103], -0.5, v[8:9]
	v_add_f64 v[20:21], v[86:87], v[20:21]
	v_fma_f64 v[6:7], v[35:36], -0.5, v[6:7]
	v_fma_f64 v[35:36], v[110:111], -0.5, v[62:63]
	v_add_f64 v[22:23], v[96:97], v[22:23]
	v_add_f64 v[54:55], v[54:55], v[66:67]
	;; [unrolled: 1-line block ×3, first 2 shown]
	v_fma_f64 v[58:59], v[52:53], s[4:5], v[0:1]
	v_fma_f64 v[0:1], v[52:53], s[6:7], v[0:1]
	;; [unrolled: 1-line block ×4, first 2 shown]
	s_barrier
	v_fma_f64 v[62:63], v[88:89], s[4:5], v[16:17]
	v_fma_f64 v[16:17], v[88:89], s[6:7], v[16:17]
	;; [unrolled: 1-line block ×4, first 2 shown]
	buffer_gl0_inv
	v_add_f64 v[39:40], v[39:40], v[42:43]
	v_fma_f64 v[66:67], v[50:51], s[4:5], v[4:5]
	v_fma_f64 v[4:5], v[50:51], s[6:7], v[4:5]
	v_add_f64 v[44:45], v[44:45], v[46:47]
	v_fma_f64 v[46:47], v[60:61], s[6:7], v[56:57]
	v_fma_f64 v[50:51], v[60:61], s[4:5], v[56:57]
	;; [unrolled: 1-line block ×10, first 2 shown]
	ds_write2_b64 v80, v[48:49], v[58:59] offset1:117
	ds_write2_b64 v78, v[0:1], v[10:11] offset0:106 offset1:223
	ds_write2_b64 v76, v[52:53], v[2:3] offset0:84 offset1:201
	;; [unrolled: 1-line block ×3, first 2 shown]
	ds_write_b64 v127, v[16:17] offset:7488
	ds_write2_b64 v131, v[22:23], v[64:65] offset0:29 offset1:146
	ds_write_b64 v128, v[18:19] offset:10296
	ds_write2_b64 v132, v[33:34], v[66:67] offset0:124 offset1:241
	ds_write_b64 v129, v[4:5] offset:13104
	s_waitcnt lgkmcnt(0)
	s_barrier
	buffer_gl0_inv
	ds_read2_b64 v[0:3], v80 offset1:117
	ds_read2_b64 v[4:7], v78 offset0:106 offset1:223
	ds_read2_b64 v[8:11], v81 offset0:62 offset1:179
	;; [unrolled: 1-line block ×6, first 2 shown]
	ds_read_b64 v[42:43], v80 offset:13104
	v_add_f64 v[31:32], v[84:85], v[31:32]
	v_add_f64 v[37:38], v[90:91], v[37:38]
	s_waitcnt lgkmcnt(0)
	s_barrier
	buffer_gl0_inv
	ds_write2_b64 v80, v[54:55], v[46:47] offset1:117
	ds_write2_b64 v78, v[50:51], v[31:32] offset0:106 offset1:223
	ds_write2_b64 v76, v[56:57], v[29:30] offset0:84 offset1:201
	;; [unrolled: 1-line block ×3, first 2 shown]
	ds_write_b64 v127, v[68:69] offset:7488
	ds_write2_b64 v131, v[39:40], v[70:71] offset0:29 offset1:146
	ds_write_b64 v128, v[72:73] offset:10296
	ds_write2_b64 v132, v[44:45], v[74:75] offset0:124 offset1:241
	ds_write_b64 v129, v[35:36] offset:13104
	s_waitcnt lgkmcnt(0)
	s_barrier
	buffer_gl0_inv
	s_and_saveexec_b32 s0, vcc_lo
	s_cbranch_execz .LBB0_21
; %bb.20:
	v_lshlrev_b32_e32 v40, 2, v28
	v_add_nc_u32_e32 v85, 0x1c00, v80
	v_add_nc_u32_e32 v89, 0xc00, v80
	;; [unrolled: 1-line block ×4, first 2 shown]
	v_lshlrev_b64 v[28:29], 4, v[40:41]
	v_lshlrev_b32_e32 v40, 2, v77
	v_add_nc_u32_e32 v102, 0x1400, v80
	v_add_nc_u32_e32 v108, 0x2800, v80
	;; [unrolled: 1-line block ×3, first 2 shown]
	v_lshlrev_b64 v[113:114], 4, v[104:105]
	v_add_co_u32 v30, vcc_lo, s12, v28
	v_add_co_ci_u32_e32 v31, vcc_lo, s13, v29, vcc_lo
	v_lshlrev_b64 v[28:29], 4, v[40:41]
	v_add_co_u32 v36, vcc_lo, 0x1520, v30
	v_add_co_ci_u32_e32 v37, vcc_lo, 0, v31, vcc_lo
	v_add_co_u32 v30, vcc_lo, 0x1000, v30
	v_add_co_ci_u32_e32 v31, vcc_lo, 0, v31, vcc_lo
	v_add_co_u32 v44, vcc_lo, s12, v28
	v_lshlrev_b32_e32 v40, 2, v112
	v_add_co_ci_u32_e32 v45, vcc_lo, s13, v29, vcc_lo
	v_add_co_u32 v38, vcc_lo, 0x1000, v44
	v_lshlrev_b64 v[60:61], 4, v[40:41]
	v_add_co_ci_u32_e32 v39, vcc_lo, 0, v45, vcc_lo
	v_add_co_u32 v64, vcc_lo, 0x1520, v44
	v_add_co_ci_u32_e32 v65, vcc_lo, 0, v45, vcc_lo
	s_clause 0x5
	global_load_dwordx4 v[28:31], v[30:31], off offset:1312
	global_load_dwordx4 v[32:35], v[36:37], off offset:48
	;; [unrolled: 1-line block ×6, first 2 shown]
	v_add_co_u32 v38, vcc_lo, s12, v60
	v_add_co_ci_u32_e32 v39, vcc_lo, s13, v61, vcc_lo
	s_clause 0x1
	global_load_dwordx4 v[60:63], v[64:65], off offset:32
	global_load_dwordx4 v[64:67], v[64:65], off offset:16
	v_add_co_u32 v36, vcc_lo, 0x1520, v38
	v_add_co_ci_u32_e32 v37, vcc_lo, 0, v39, vcc_lo
	v_add_co_u32 v38, vcc_lo, 0x1000, v38
	v_add_co_ci_u32_e32 v39, vcc_lo, 0, v39, vcc_lo
	s_clause 0x3
	global_load_dwordx4 v[68:71], v[36:37], off offset:16
	global_load_dwordx4 v[72:75], v[38:39], off offset:1312
	;; [unrolled: 1-line block ×4, first 2 shown]
	ds_read_b64 v[109:110], v80 offset:13104
	ds_read2_b64 v[36:39], v80 offset1:117
	v_mul_hi_u32 v80, 0x756cac21, v112
	v_mul_hi_u32 v105, 0x756cac21, v111
	v_add_nc_u32_e32 v116, 0xea, v112
	v_mul_lo_u32 v40, s3, v106
	v_mul_lo_u32 v101, s2, v107
	v_mad_u64_u32 v[106:107], null, s2, v106, 0
	v_mul_hi_u32 v118, 0x756cac21, v116
	v_sub_nc_u32_e32 v86, v112, v80
	v_sub_nc_u32_e32 v103, v111, v105
	v_mov_b32_e32 v115, v41
	v_mov_b32_e32 v117, v41
	;; [unrolled: 1-line block ×3, first 2 shown]
	v_lshrrev_b32_e32 v94, 1, v86
	v_lshrrev_b32_e32 v121, 1, v103
	v_sub_nc_u32_e32 v104, v116, v118
	v_add3_u32 v107, v107, v101, v40
	ds_read2_b64 v[85:88], v85 offset0:40 offset1:157
	ds_read2_b64 v[89:92], v89 offset0:84 offset1:201
	v_add_nc_u32_e32 v80, v94, v80
	v_add_nc_u32_e32 v40, v121, v105
	v_lshrrev_b32_e32 v123, 1, v104
	v_lshlrev_b64 v[125:126], 4, v[106:107]
	ds_read2_b64 v[93:96], v93 offset0:18 offset1:135
	ds_read2_b64 v[97:100], v97 offset0:106 offset1:223
	v_lshrrev_b32_e32 v80, 8, v80
	v_lshrrev_b32_e32 v40, 8, v40
	v_add_nc_u32_e32 v118, v123, v118
	ds_read2_b64 v[101:104], v102 offset0:62 offset1:179
	ds_read2_b64 v[105:108], v108 offset0:124 offset1:241
	v_mul_u32_u24_e32 v80, 0x15f, v80
	v_mul_u32_u24_e32 v123, 0x15f, v40
	v_lshrrev_b32_e32 v121, 8, v118
	v_mov_b32_e32 v120, v41
	v_mov_b32_e32 v122, v41
	v_sub_nc_u32_e32 v80, v112, v80
	v_add_co_u32 v112, vcc_lo, s10, v125
	v_add_co_ci_u32_e32 v118, vcc_lo, s11, v126, vcc_lo
	v_mul_u32_u24_e32 v125, 0x15f, v121
	v_add_co_u32 v187, vcc_lo, v112, v113
	v_sub_nc_u32_e32 v113, v111, v123
	v_add_co_ci_u32_e32 v188, vcc_lo, v118, v114, vcc_lo
	v_sub_nc_u32_e32 v123, v116, v125
	v_mov_b32_e32 v124, v41
	v_mad_u32_u24 v40, 0x6db, v40, v113
	v_lshlrev_b32_e32 v80, 4, v80
	s_mov_b32 s6, 0x134454ff
	s_mov_b32 s7, 0xbfee6f0e
	;; [unrolled: 1-line block ×3, first 2 shown]
	v_lshlrev_b64 v[131:132], 4, v[40:41]
	v_add_nc_u32_e32 v114, 0x15f, v40
	v_add_nc_u32_e32 v116, 0x2be, v40
	;; [unrolled: 1-line block ×4, first 2 shown]
	v_add_co_u32 v111, vcc_lo, v187, v80
	v_lshlrev_b64 v[113:114], 4, v[114:115]
	v_lshlrev_b64 v[115:116], 4, v[116:117]
	v_lshlrev_b64 v[135:136], 4, v[40:41]
	v_mad_u32_u24 v40, 0x6db, v121, v123
	v_lshlrev_b64 v[117:118], 4, v[118:119]
	v_add_co_ci_u32_e32 v112, vcc_lo, 0, v188, vcc_lo
	v_add_co_u32 v125, vcc_lo, 0x1000, v111
	v_lshlrev_b64 v[137:138], 4, v[40:41]
	v_add_nc_u32_e32 v119, 0x15f, v40
	v_add_nc_u32_e32 v121, 0x2be, v40
	;; [unrolled: 1-line block ×4, first 2 shown]
	v_add_co_ci_u32_e32 v126, vcc_lo, 0, v112, vcc_lo
	v_add_co_u32 v127, vcc_lo, 0x2800, v111
	v_lshlrev_b64 v[139:140], 4, v[40:41]
	v_add_co_ci_u32_e32 v128, vcc_lo, 0, v112, vcc_lo
	v_add_co_u32 v129, vcc_lo, 0x4000, v111
	v_add_co_ci_u32_e32 v130, vcc_lo, 0, v112, vcc_lo
	v_add_co_u32 v133, vcc_lo, 0x5000, v111
	;; [unrolled: 2-line block ×7, first 2 shown]
	v_lshlrev_b64 v[119:120], 4, v[119:120]
	v_add_co_ci_u32_e32 v136, vcc_lo, v188, v136, vcc_lo
	v_lshlrev_b64 v[121:122], 4, v[121:122]
	v_add_co_u32 v137, vcc_lo, v187, v137
	v_add_co_ci_u32_e32 v138, vcc_lo, v188, v138, vcc_lo
	v_add_co_u32 v119, vcc_lo, v187, v119
	v_add_co_ci_u32_e32 v120, vcc_lo, v188, v120, vcc_lo
	s_mov_b32 s8, s6
	s_mov_b32 s2, 0x4755a5e
	;; [unrolled: 1-line block ×7, first 2 shown]
	v_lshlrev_b64 v[123:124], 4, v[123:124]
	s_waitcnt vmcnt(9)
	v_mul_f64 v[143:144], v[22:23], v[46:47]
	s_waitcnt vmcnt(8)
	v_mul_f64 v[40:41], v[12:13], v[50:51]
	v_mul_f64 v[141:142], v[26:27], v[30:31]
	;; [unrolled: 1-line block ×3, first 2 shown]
	s_waitcnt lgkmcnt(4)
	v_mul_f64 v[30:31], v[91:92], v[30:31]
	v_mul_f64 v[34:35], v[109:110], v[34:35]
	;; [unrolled: 1-line block ×3, first 2 shown]
	s_waitcnt lgkmcnt(3)
	v_mul_f64 v[46:47], v[95:96], v[46:47]
	s_waitcnt vmcnt(7)
	v_mul_f64 v[149:150], v[24:25], v[54:55]
	s_waitcnt vmcnt(6)
	;; [unrolled: 2-line block ×3, first 2 shown]
	v_mul_f64 v[147:148], v[10:11], v[66:67]
	v_mul_f64 v[54:55], v[89:90], v[54:55]
	s_waitcnt lgkmcnt(0)
	v_mul_f64 v[58:59], v[107:108], v[58:59]
	v_mul_f64 v[66:67], v[103:104], v[66:67]
	;; [unrolled: 1-line block ×4, first 2 shown]
	s_waitcnt vmcnt(3)
	v_mul_f64 v[155:156], v[8:9], v[70:71]
	s_waitcnt vmcnt(2)
	v_mul_f64 v[157:158], v[6:7], v[74:75]
	;; [unrolled: 2-line block ×4, first 2 shown]
	v_mul_f64 v[74:75], v[99:100], v[74:75]
	v_mul_f64 v[83:84], v[105:106], v[83:84]
	;; [unrolled: 1-line block ×4, first 2 shown]
	v_fma_f64 v[40:41], v[85:86], v[48:49], v[40:41]
	v_fma_f64 v[85:86], v[91:92], v[28:29], v[141:142]
	;; [unrolled: 1-line block ×4, first 2 shown]
	v_fma_f64 v[26:27], v[26:27], v[28:29], -v[30:31]
	v_fma_f64 v[28:29], v[42:43], v[32:33], -v[34:35]
	;; [unrolled: 1-line block ×4, first 2 shown]
	v_fma_f64 v[32:33], v[89:90], v[52:53], v[149:150]
	v_fma_f64 v[42:43], v[107:108], v[56:57], v[153:154]
	v_fma_f64 v[24:25], v[24:25], v[52:53], -v[54:55]
	v_fma_f64 v[18:19], v[18:19], v[56:57], -v[58:59]
	;; [unrolled: 1-line block ×3, first 2 shown]
	v_fma_f64 v[30:31], v[103:104], v[64:65], v[147:148]
	v_fma_f64 v[44:45], v[101:102], v[68:69], v[155:156]
	;; [unrolled: 1-line block ×5, first 2 shown]
	v_fma_f64 v[6:7], v[6:7], v[72:73], -v[74:75]
	v_fma_f64 v[16:17], v[16:17], v[81:82], -v[83:84]
	;; [unrolled: 1-line block ×4, first 2 shown]
	v_fma_f64 v[34:35], v[93:94], v[60:61], v[151:152]
	v_fma_f64 v[20:21], v[20:21], v[60:61], -v[62:63]
	v_add_f64 v[52:53], v[40:41], -v[85:86]
	v_add_f64 v[54:55], v[91:92], -v[95:96]
	v_add_f64 v[58:59], v[85:86], v[95:96]
	v_add_f64 v[56:57], v[26:27], -v[28:29]
	v_add_f64 v[62:63], v[85:86], -v[40:41]
	;; [unrolled: 1-line block ×3, first 2 shown]
	v_add_f64 v[66:67], v[40:41], v[91:92]
	v_add_f64 v[68:69], v[85:86], v[97:98]
	v_add_f64 v[70:71], v[12:13], -v[26:27]
	v_add_f64 v[76:77], v[26:27], v[28:29]
	v_add_f64 v[78:79], v[85:86], -v[95:96]
	v_add_f64 v[80:81], v[26:27], -v[12:13]
	v_add_f64 v[84:85], v[12:13], v[22:23]
	v_add_f64 v[26:27], v[4:5], v[26:27]
	;; [unrolled: 1-line block ×6, first 2 shown]
	v_add_f64 v[93:94], v[24:25], -v[18:19]
	v_add_f64 v[185:186], v[8:9], v[14:15]
	v_add_f64 v[141:142], v[10:11], -v[24:25]
	v_add_f64 v[147:148], v[24:25], v[18:19]
	;; [unrolled: 2-line block ×3, first 2 shown]
	v_add_f64 v[171:172], v[46:47], v[36:37]
	v_add_f64 v[107:108], v[30:31], v[34:35]
	v_add_co_u32 v109, vcc_lo, v187, v121
	v_add_f64 v[82:83], v[28:29], -v[22:23]
	v_add_f64 v[153:154], v[10:11], v[20:21]
	v_add_co_ci_u32_e32 v110, vcc_lo, v188, v122, vcc_lo
	v_add_f64 v[121:122], v[32:33], v[38:39]
	v_add_f64 v[159:160], v[6:7], -v[16:17]
	v_add_f64 v[173:174], v[8:9], -v[6:7]
	;; [unrolled: 1-line block ×3, first 2 shown]
	v_add_f64 v[6:7], v[0:1], v[6:7]
	v_add_f64 v[60:61], v[12:13], -v[22:23]
	v_add_f64 v[74:75], v[40:41], -v[91:92]
	;; [unrolled: 1-line block ×7, first 2 shown]
	v_add_f64 v[52:53], v[52:53], v[54:55]
	v_fma_f64 v[54:55], v[58:59], -0.5, v[97:98]
	v_add_f64 v[58:59], v[62:63], v[64:65]
	v_fma_f64 v[62:63], v[66:67], -0.5, v[97:98]
	;; [unrolled: 2-line block ×3, first 2 shown]
	v_fma_f64 v[4:5], v[84:85], -0.5, v[4:5]
	v_add_f64 v[12:13], v[12:13], v[26:27]
	v_fma_f64 v[26:27], v[99:100], -0.5, v[38:39]
	v_fma_f64 v[84:85], v[161:162], -0.5, v[36:37]
	;; [unrolled: 1-line block ×5, first 2 shown]
	v_add_f64 v[163:164], v[8:9], -v[14:15]
	v_add_f64 v[177:178], v[44:45], -v[48:49]
	v_add_f64 v[10:11], v[10:11], v[24:25]
	v_add_f64 v[44:45], v[44:45], v[171:172]
	v_fma_f64 v[38:39], v[107:108], -0.5, v[38:39]
	v_add_f64 v[72:73], v[22:23], -v[28:29]
	v_add_f64 v[103:104], v[32:33], -v[30:31]
	;; [unrolled: 1-line block ×6, first 2 shown]
	v_add_f64 v[68:69], v[80:81], v[82:83]
	v_fma_f64 v[80:81], v[147:148], -0.5, v[2:3]
	v_fma_f64 v[2:3], v[153:154], -0.5, v[2:3]
	v_add_f64 v[145:146], v[30:31], -v[34:35]
	v_add_f64 v[30:31], v[30:31], v[121:122]
	v_add_f64 v[6:7], v[8:9], v[6:7]
	v_add_f64 v[88:89], v[34:35], -v[42:43]
	v_add_f64 v[167:168], v[50:51], -v[48:49]
	;; [unrolled: 1-line block ×3, first 2 shown]
	v_add_f64 v[76:77], v[141:142], v[143:144]
	v_fma_f64 v[8:9], v[60:61], s[6:7], v[54:55]
	v_fma_f64 v[54:55], v[60:61], s[8:9], v[54:55]
	v_add_f64 v[40:41], v[91:92], v[40:41]
	v_add_f64 v[12:13], v[12:13], v[22:23]
	v_fma_f64 v[22:23], v[101:102], s[6:7], v[26:27]
	v_fma_f64 v[26:27], v[101:102], s[8:9], v[26:27]
	;; [unrolled: 1-line block ×5, first 2 shown]
	v_add_f64 v[157:158], v[48:49], -v[50:51]
	v_add_f64 v[175:176], v[14:15], -v[16:17]
	v_add_f64 v[10:11], v[10:11], v[20:21]
	v_fma_f64 v[20:21], v[163:164], s[6:7], v[84:85]
	v_fma_f64 v[84:85], v[163:164], s[8:9], v[84:85]
	v_add_f64 v[44:45], v[48:49], v[44:45]
	v_fma_f64 v[48:49], v[177:178], s[8:9], v[97:98]
	v_fma_f64 v[97:98], v[177:178], s[6:7], v[97:98]
	;; [unrolled: 1-line block ×3, first 2 shown]
	v_add_f64 v[64:65], v[70:71], v[72:73]
	v_add_f64 v[72:73], v[103:104], v[105:106]
	v_add_f64 v[82:83], v[149:150], v[151:152]
	v_fma_f64 v[103:104], v[56:57], s[8:9], v[62:63]
	v_fma_f64 v[62:63], v[56:57], s[6:7], v[62:63]
	;; [unrolled: 1-line block ×8, first 2 shown]
	v_add_f64 v[30:31], v[34:35], v[30:31]
	v_fma_f64 v[34:35], v[145:146], s[8:9], v[80:81]
	v_fma_f64 v[80:81], v[145:146], s[6:7], v[80:81]
	;; [unrolled: 1-line block ×4, first 2 shown]
	v_add_f64 v[14:15], v[6:7], v[14:15]
	v_add_f64 v[70:71], v[86:87], v[88:89]
	v_add_f64 v[86:87], v[165:166], v[167:168]
	v_add_f64 v[99:100], v[181:182], v[183:184]
	v_fma_f64 v[151:152], v[56:57], s[2:3], v[8:9]
	v_fma_f64 v[54:55], v[56:57], s[4:5], v[54:55]
	v_add_f64 v[2:3], v[95:96], v[40:41]
	v_add_f64 v[0:1], v[12:13], v[28:29]
	v_fma_f64 v[12:13], v[93:94], s[2:3], v[22:23]
	v_fma_f64 v[28:29], v[93:94], s[4:5], v[26:27]
	;; [unrolled: 1-line block ×4, first 2 shown]
	v_add_f64 v[24:25], v[155:156], v[157:158]
	v_add_f64 v[88:89], v[173:174], v[175:176]
	v_fma_f64 v[84:85], v[159:160], s[4:5], v[84:85]
	v_fma_f64 v[96:97], v[46:47], s[2:3], v[97:98]
	;; [unrolled: 1-line block ×18, first 2 shown]
	v_add_f64 v[4:5], v[10:11], v[18:19]
	v_add_f64 v[10:11], v[50:51], v[44:45]
	;; [unrolled: 1-line block ×3, first 2 shown]
	v_fma_f64 v[14:15], v[52:53], s[0:1], v[151:152]
	v_fma_f64 v[18:19], v[52:53], s[0:1], v[54:55]
	;; [unrolled: 1-line block ×6, first 2 shown]
	v_add_f64 v[6:7], v[42:43], v[30:31]
	v_fma_f64 v[38:39], v[72:73], s[0:1], v[40:41]
	v_fma_f64 v[42:43], v[24:25], s[0:1], v[20:21]
	;; [unrolled: 1-line block ×18, first 2 shown]
	v_add_co_u32 v60, vcc_lo, v187, v123
	v_add_co_ci_u32_e32 v61, vcc_lo, v188, v124, vcc_lo
	v_add_co_u32 v62, vcc_lo, v187, v139
	v_add_co_ci_u32_e32 v63, vcc_lo, v188, v140, vcc_lo
	global_store_dwordx4 v[111:112], v[8:11], off
	global_store_dwordx4 v[125:126], v[52:55], off offset:1520
	global_store_dwordx4 v[127:128], v[44:47], off offset:992
	;; [unrolled: 1-line block ×4, first 2 shown]
	global_store_dwordx4 v[131:132], v[4:7], off
	global_store_dwordx4 v[113:114], v[56:59], off
	;; [unrolled: 1-line block ×10, first 2 shown]
.LBB0_21:
	s_endpgm
	.section	.rodata,"a",@progbits
	.p2align	6, 0x0
	.amdhsa_kernel fft_rtc_fwd_len1755_factors_13_3_3_3_5_wgs_117_tpt_117_halfLds_dp_op_CI_CI_unitstride_sbrr_dirReg
		.amdhsa_group_segment_fixed_size 0
		.amdhsa_private_segment_fixed_size 0
		.amdhsa_kernarg_size 104
		.amdhsa_user_sgpr_count 6
		.amdhsa_user_sgpr_private_segment_buffer 1
		.amdhsa_user_sgpr_dispatch_ptr 0
		.amdhsa_user_sgpr_queue_ptr 0
		.amdhsa_user_sgpr_kernarg_segment_ptr 1
		.amdhsa_user_sgpr_dispatch_id 0
		.amdhsa_user_sgpr_flat_scratch_init 0
		.amdhsa_user_sgpr_private_segment_size 0
		.amdhsa_wavefront_size32 1
		.amdhsa_uses_dynamic_stack 0
		.amdhsa_system_sgpr_private_segment_wavefront_offset 0
		.amdhsa_system_sgpr_workgroup_id_x 1
		.amdhsa_system_sgpr_workgroup_id_y 0
		.amdhsa_system_sgpr_workgroup_id_z 0
		.amdhsa_system_sgpr_workgroup_info 0
		.amdhsa_system_vgpr_workitem_id 0
		.amdhsa_next_free_vgpr 235
		.amdhsa_next_free_sgpr 46
		.amdhsa_reserve_vcc 1
		.amdhsa_reserve_flat_scratch 0
		.amdhsa_float_round_mode_32 0
		.amdhsa_float_round_mode_16_64 0
		.amdhsa_float_denorm_mode_32 3
		.amdhsa_float_denorm_mode_16_64 3
		.amdhsa_dx10_clamp 1
		.amdhsa_ieee_mode 1
		.amdhsa_fp16_overflow 0
		.amdhsa_workgroup_processor_mode 1
		.amdhsa_memory_ordered 1
		.amdhsa_forward_progress 0
		.amdhsa_shared_vgpr_count 0
		.amdhsa_exception_fp_ieee_invalid_op 0
		.amdhsa_exception_fp_denorm_src 0
		.amdhsa_exception_fp_ieee_div_zero 0
		.amdhsa_exception_fp_ieee_overflow 0
		.amdhsa_exception_fp_ieee_underflow 0
		.amdhsa_exception_fp_ieee_inexact 0
		.amdhsa_exception_int_div_zero 0
	.end_amdhsa_kernel
	.text
.Lfunc_end0:
	.size	fft_rtc_fwd_len1755_factors_13_3_3_3_5_wgs_117_tpt_117_halfLds_dp_op_CI_CI_unitstride_sbrr_dirReg, .Lfunc_end0-fft_rtc_fwd_len1755_factors_13_3_3_3_5_wgs_117_tpt_117_halfLds_dp_op_CI_CI_unitstride_sbrr_dirReg
                                        ; -- End function
	.section	.AMDGPU.csdata,"",@progbits
; Kernel info:
; codeLenInByte = 17460
; NumSgprs: 48
; NumVgprs: 235
; ScratchSize: 0
; MemoryBound: 1
; FloatMode: 240
; IeeeMode: 1
; LDSByteSize: 0 bytes/workgroup (compile time only)
; SGPRBlocks: 5
; VGPRBlocks: 29
; NumSGPRsForWavesPerEU: 48
; NumVGPRsForWavesPerEU: 235
; Occupancy: 4
; WaveLimiterHint : 1
; COMPUTE_PGM_RSRC2:SCRATCH_EN: 0
; COMPUTE_PGM_RSRC2:USER_SGPR: 6
; COMPUTE_PGM_RSRC2:TRAP_HANDLER: 0
; COMPUTE_PGM_RSRC2:TGID_X_EN: 1
; COMPUTE_PGM_RSRC2:TGID_Y_EN: 0
; COMPUTE_PGM_RSRC2:TGID_Z_EN: 0
; COMPUTE_PGM_RSRC2:TIDIG_COMP_CNT: 0
	.text
	.p2alignl 6, 3214868480
	.fill 48, 4, 3214868480
	.type	__hip_cuid_974fef25f6bb127e,@object ; @__hip_cuid_974fef25f6bb127e
	.section	.bss,"aw",@nobits
	.globl	__hip_cuid_974fef25f6bb127e
__hip_cuid_974fef25f6bb127e:
	.byte	0                               ; 0x0
	.size	__hip_cuid_974fef25f6bb127e, 1

	.ident	"AMD clang version 19.0.0git (https://github.com/RadeonOpenCompute/llvm-project roc-6.4.0 25133 c7fe45cf4b819c5991fe208aaa96edf142730f1d)"
	.section	".note.GNU-stack","",@progbits
	.addrsig
	.addrsig_sym __hip_cuid_974fef25f6bb127e
	.amdgpu_metadata
---
amdhsa.kernels:
  - .args:
      - .actual_access:  read_only
        .address_space:  global
        .offset:         0
        .size:           8
        .value_kind:     global_buffer
      - .offset:         8
        .size:           8
        .value_kind:     by_value
      - .actual_access:  read_only
        .address_space:  global
        .offset:         16
        .size:           8
        .value_kind:     global_buffer
      - .actual_access:  read_only
        .address_space:  global
        .offset:         24
        .size:           8
        .value_kind:     global_buffer
      - .actual_access:  read_only
        .address_space:  global
        .offset:         32
        .size:           8
        .value_kind:     global_buffer
      - .offset:         40
        .size:           8
        .value_kind:     by_value
      - .actual_access:  read_only
        .address_space:  global
        .offset:         48
        .size:           8
        .value_kind:     global_buffer
      - .actual_access:  read_only
        .address_space:  global
        .offset:         56
        .size:           8
        .value_kind:     global_buffer
      - .offset:         64
        .size:           4
        .value_kind:     by_value
      - .actual_access:  read_only
        .address_space:  global
        .offset:         72
        .size:           8
        .value_kind:     global_buffer
      - .actual_access:  read_only
        .address_space:  global
        .offset:         80
        .size:           8
        .value_kind:     global_buffer
      - .actual_access:  read_only
        .address_space:  global
        .offset:         88
        .size:           8
        .value_kind:     global_buffer
      - .actual_access:  write_only
        .address_space:  global
        .offset:         96
        .size:           8
        .value_kind:     global_buffer
    .group_segment_fixed_size: 0
    .kernarg_segment_align: 8
    .kernarg_segment_size: 104
    .language:       OpenCL C
    .language_version:
      - 2
      - 0
    .max_flat_workgroup_size: 117
    .name:           fft_rtc_fwd_len1755_factors_13_3_3_3_5_wgs_117_tpt_117_halfLds_dp_op_CI_CI_unitstride_sbrr_dirReg
    .private_segment_fixed_size: 0
    .sgpr_count:     48
    .sgpr_spill_count: 0
    .symbol:         fft_rtc_fwd_len1755_factors_13_3_3_3_5_wgs_117_tpt_117_halfLds_dp_op_CI_CI_unitstride_sbrr_dirReg.kd
    .uniform_work_group_size: 1
    .uses_dynamic_stack: false
    .vgpr_count:     235
    .vgpr_spill_count: 0
    .wavefront_size: 32
    .workgroup_processor_mode: 1
amdhsa.target:   amdgcn-amd-amdhsa--gfx1030
amdhsa.version:
  - 1
  - 2
...

	.end_amdgpu_metadata
